;; amdgpu-corpus repo=ROCm/rocFFT kind=compiled arch=gfx906 opt=O3
	.text
	.amdgcn_target "amdgcn-amd-amdhsa--gfx906"
	.amdhsa_code_object_version 6
	.protected	bluestein_single_back_len1496_dim1_half_op_CI_CI ; -- Begin function bluestein_single_back_len1496_dim1_half_op_CI_CI
	.globl	bluestein_single_back_len1496_dim1_half_op_CI_CI
	.p2align	8
	.type	bluestein_single_back_len1496_dim1_half_op_CI_CI,@function
bluestein_single_back_len1496_dim1_half_op_CI_CI: ; @bluestein_single_back_len1496_dim1_half_op_CI_CI
; %bb.0:
	s_load_dwordx4 s[0:3], s[4:5], 0x28
	v_mul_u32_u24_e32 v1, 0x15f, v0
	v_add_u32_sdwa v15, s6, v1 dst_sel:DWORD dst_unused:UNUSED_PAD src0_sel:DWORD src1_sel:WORD_1
	v_mov_b32_e32 v16, 0
	s_waitcnt lgkmcnt(0)
	v_cmp_gt_u64_e32 vcc, s[0:1], v[15:16]
	s_and_saveexec_b64 s[0:1], vcc
	s_cbranch_execz .LBB0_23
; %bb.1:
	s_load_dwordx2 s[6:7], s[4:5], 0x0
	s_load_dwordx2 s[12:13], s[4:5], 0x38
	s_movk_i32 s0, 0xbb
	v_mul_lo_u16_sdwa v1, v1, s0 dst_sel:DWORD dst_unused:UNUSED_PAD src0_sel:WORD_1 src1_sel:DWORD
	v_sub_u16_e32 v36, v0, v1
	s_movk_i32 s0, 0x58
	v_cmp_gt_u16_e32 vcc, s0, v36
	v_lshlrev_b32_e32 v37, 2, v36
	s_and_saveexec_b64 s[14:15], vcc
	s_cbranch_execz .LBB0_3
; %bb.2:
	s_load_dwordx2 s[0:1], s[4:5], 0x18
	s_waitcnt lgkmcnt(0)
	v_mov_b32_e32 v17, s7
	v_or_b32_e32 v20, 0x580, v36
	v_lshlrev_b32_e32 v22, 2, v20
	v_add_u32_e32 v18, 0x200, v37
	s_load_dwordx4 s[8:11], s[0:1], 0x0
	s_waitcnt lgkmcnt(0)
	v_mad_u64_u32 v[0:1], s[0:1], s10, v15, 0
	v_mad_u64_u32 v[2:3], s[0:1], s8, v36, 0
	;; [unrolled: 1-line block ×4, first 2 shown]
	v_mov_b32_e32 v1, v4
	v_lshlrev_b64 v[0:1], 2, v[0:1]
	v_mov_b32_e32 v3, v5
	v_mov_b32_e32 v6, s3
	v_lshlrev_b64 v[2:3], 2, v[2:3]
	v_add_co_u32_e64 v8, s[0:1], s2, v0
	v_addc_co_u32_e64 v9, s[0:1], v6, v1, s[0:1]
	v_add_co_u32_e64 v0, s[0:1], v8, v2
	v_addc_co_u32_e64 v1, s[0:1], v9, v3, s[0:1]
	s_mul_i32 s0, s9, 0x160
	s_mul_hi_u32 s3, s8, 0x160
	s_add_i32 s3, s3, s0
	s_mul_i32 s2, s8, 0x160
	v_mov_b32_e32 v3, s3
	v_add_co_u32_e64 v2, s[0:1], s2, v0
	v_addc_co_u32_e64 v3, s[0:1], v1, v3, s[0:1]
	global_load_dword v4, v[0:1], off
	global_load_dword v5, v[2:3], off
	global_load_dword v6, v37, s[6:7]
	global_load_dword v7, v37, s[6:7] offset:352
	v_mov_b32_e32 v1, s3
	v_add_co_u32_e64 v0, s[0:1], s2, v2
	v_addc_co_u32_e64 v1, s[0:1], v3, v1, s[0:1]
	global_load_dword v2, v[0:1], off
	global_load_dword v3, v37, s[6:7] offset:704
	v_mov_b32_e32 v10, s3
	v_add_co_u32_e64 v0, s[0:1], s2, v0
	v_addc_co_u32_e64 v1, s[0:1], v1, v10, s[0:1]
	global_load_dword v10, v[0:1], off
	;; [unrolled: 5-line block ×3, first 2 shown]
	global_load_dword v13, v37, s[6:7] offset:1408
	v_mov_b32_e32 v14, s3
	v_add_co_u32_e64 v0, s[0:1], s2, v0
	v_addc_co_u32_e64 v1, s[0:1], v1, v14, s[0:1]
	v_add_co_u32_e64 v21, s[0:1], s6, v37
	global_load_dword v14, v[0:1], off
	global_load_dword v16, v37, s[6:7] offset:1760
	v_addc_co_u32_e64 v17, s[0:1], 0, v17, s[0:1]
	v_mov_b32_e32 v23, s3
	v_add_co_u32_e64 v0, s[0:1], s2, v0
	v_addc_co_u32_e64 v1, s[0:1], v1, v23, s[0:1]
	global_load_dword v23, v[0:1], off
	v_add_co_u32_e64 v0, s[0:1], s2, v0
	global_load_dword v19, v37, s[6:7] offset:2112
	s_waitcnt vmcnt(13)
	v_lshrrev_b32_e32 v24, 16, v4
	global_load_dword v22, v22, s[6:7]
	s_waitcnt vmcnt(12)
	v_mul_f16_sdwa v25, v6, v4 dst_sel:DWORD dst_unused:UNUSED_PAD src0_sel:WORD_1 src1_sel:DWORD
	v_fma_f16 v25, v6, v24, -v25
	v_mul_f16_sdwa v24, v6, v24 dst_sel:DWORD dst_unused:UNUSED_PAD src0_sel:WORD_1 src1_sel:DWORD
	v_lshrrev_b32_e32 v26, 16, v5
	s_waitcnt vmcnt(11)
	v_mul_f16_sdwa v27, v7, v5 dst_sel:DWORD dst_unused:UNUSED_PAD src0_sel:WORD_1 src1_sel:DWORD
	v_fma_f16 v4, v6, v4, v24
	v_fma_f16 v6, v7, v26, -v27
	v_mul_f16_sdwa v24, v7, v26 dst_sel:DWORD dst_unused:UNUSED_PAD src0_sel:WORD_1 src1_sel:DWORD
	s_waitcnt vmcnt(10)
	v_lshrrev_b32_e32 v26, 16, v2
	s_waitcnt vmcnt(9)
	v_mul_f16_sdwa v27, v3, v2 dst_sel:DWORD dst_unused:UNUSED_PAD src0_sel:WORD_1 src1_sel:DWORD
	v_fma_f16 v5, v7, v5, v24
	v_pack_b32_f16 v4, v4, v25
	v_mul_f16_sdwa v7, v3, v26 dst_sel:DWORD dst_unused:UNUSED_PAD src0_sel:WORD_1 src1_sel:DWORD
	s_waitcnt vmcnt(8)
	v_lshrrev_b32_e32 v25, 16, v10
	v_fma_f16 v24, v3, v26, -v27
	s_waitcnt vmcnt(7)
	v_mul_f16_sdwa v26, v11, v10 dst_sel:DWORD dst_unused:UNUSED_PAD src0_sel:WORD_1 src1_sel:DWORD
	v_fma_f16 v2, v3, v2, v7
	v_mul_f16_sdwa v3, v11, v25 dst_sel:DWORD dst_unused:UNUSED_PAD src0_sel:WORD_1 src1_sel:DWORD
	v_pack_b32_f16 v5, v5, v6
	v_fma_f16 v6, v11, v25, -v26
	v_pack_b32_f16 v24, v2, v24
	v_fma_f16 v2, v11, v10, v3
	v_pack_b32_f16 v27, v2, v6
	v_mov_b32_e32 v2, s3
	v_addc_co_u32_e64 v1, s[0:1], v1, v2, s[0:1]
	global_load_dword v28, v[0:1], off
	v_add_co_u32_e64 v0, s[0:1], s2, v0
	ds_write2_b32 v37, v4, v5 offset1:88
	v_addc_co_u32_e64 v1, s[0:1], v1, v2, s[0:1]
	global_load_dword v29, v[0:1], off
	global_load_dword v30, v37, s[6:7] offset:2464
	v_add_co_u32_e64 v0, s[0:1], s2, v0
	v_addc_co_u32_e64 v1, s[0:1], v1, v2, s[0:1]
	global_load_dword v31, v[0:1], off
	v_add_co_u32_e64 v0, s[0:1], s2, v0
	v_addc_co_u32_e64 v1, s[0:1], v1, v2, s[0:1]
	global_load_dword v32, v37, s[6:7] offset:2816
	global_load_dword v33, v[0:1], off
	global_load_dword v34, v37, s[6:7] offset:3168
	v_add_co_u32_e64 v0, s[0:1], s2, v0
	global_load_dword v38, v37, s[6:7] offset:3520
	global_load_dword v40, v37, s[6:7] offset:3872
	v_addc_co_u32_e64 v1, s[0:1], v1, v2, s[0:1]
	global_load_dword v35, v[0:1], off
	v_add_co_u32_e64 v0, s[0:1], s2, v0
	v_addc_co_u32_e64 v1, s[0:1], v1, v2, s[0:1]
	v_mad_u64_u32 v[2:3], s[0:1], s8, v20, 0
	s_movk_i32 s0, 0x1000
	v_add_co_u32_e64 v4, s[0:1], s0, v21
	global_load_dword v39, v[0:1], off
	v_addc_co_u32_e64 v5, s[0:1], 0, v17, s[0:1]
	global_load_dword v17, v[4:5], off offset:128
	s_waitcnt vmcnt(18)
	v_lshrrev_b32_e32 v7, 16, v12
	s_waitcnt vmcnt(17)
	v_mul_f16_sdwa v25, v13, v12 dst_sel:DWORD dst_unused:UNUSED_PAD src0_sel:WORD_1 src1_sel:DWORD
	v_mov_b32_e32 v6, s3
	v_add_co_u32_e64 v0, s[0:1], s2, v0
	v_mul_f16_sdwa v10, v13, v7 dst_sel:DWORD dst_unused:UNUSED_PAD src0_sel:WORD_1 src1_sel:DWORD
	v_fma_f16 v11, v13, v7, -v25
	v_addc_co_u32_e64 v1, s[0:1], v1, v6, s[0:1]
	v_mad_u64_u32 v[6:7], s[0:1], s9, v20, v[3:4]
	global_load_dword v7, v[0:1], off
	global_load_dword v20, v[4:5], off offset:480
	v_mov_b32_e32 v3, s3
	v_add_co_u32_e64 v0, s[0:1], s2, v0
	v_addc_co_u32_e64 v1, s[0:1], v1, v3, s[0:1]
	global_load_dword v21, v[0:1], off
	global_load_dword v41, v[4:5], off offset:832
	v_add_co_u32_e64 v0, s[0:1], s2, v0
	v_addc_co_u32_e64 v1, s[0:1], v1, v3, s[0:1]
	v_mov_b32_e32 v3, v6
	global_load_dword v42, v[0:1], off
	global_load_dword v43, v[4:5], off offset:1184
	v_lshlrev_b64 v[0:1], 2, v[2:3]
	s_waitcnt vmcnt(22)
	v_lshrrev_b32_e32 v25, 16, v14
	v_add_co_u32_e64 v0, s[0:1], v8, v0
	v_addc_co_u32_e64 v1, s[0:1], v9, v1, s[0:1]
	global_load_dword v0, v[0:1], off
	s_waitcnt vmcnt(22)
	v_mul_f16_sdwa v26, v16, v14 dst_sel:DWORD dst_unused:UNUSED_PAD src0_sel:WORD_1 src1_sel:DWORD
	v_mul_f16_sdwa v2, v16, v25 dst_sel:DWORD dst_unused:UNUSED_PAD src0_sel:WORD_1 src1_sel:DWORD
	v_fma_f16 v1, v13, v12, v10
	v_fma_f16 v2, v16, v14, v2
	v_fma_f16 v3, v16, v25, -v26
	v_pack_b32_f16 v1, v1, v11
	v_pack_b32_f16 v2, v2, v3
	v_add_u32_e32 v3, 0x400, v37
	ds_write2_b32 v3, v1, v2 offset0:96 offset1:184
	s_waitcnt vmcnt(21)
	v_lshrrev_b32_e32 v1, 16, v23
	s_waitcnt vmcnt(20)
	v_mul_f16_sdwa v2, v19, v1 dst_sel:DWORD dst_unused:UNUSED_PAD src0_sel:WORD_1 src1_sel:DWORD
	v_mul_f16_sdwa v3, v19, v23 dst_sel:DWORD dst_unused:UNUSED_PAD src0_sel:WORD_1 src1_sel:DWORD
	v_fma_f16 v2, v19, v23, v2
	v_fma_f16 v1, v19, v1, -v3
	v_pack_b32_f16 v1, v2, v1
	s_waitcnt vmcnt(18)
	v_lshrrev_b32_e32 v2, 16, v28
	ds_write2_b32 v18, v24, v27 offset0:48 offset1:136
	s_waitcnt vmcnt(16)
	v_mul_f16_sdwa v3, v30, v2 dst_sel:DWORD dst_unused:UNUSED_PAD src0_sel:WORD_1 src1_sel:DWORD
	v_mul_f16_sdwa v4, v30, v28 dst_sel:DWORD dst_unused:UNUSED_PAD src0_sel:WORD_1 src1_sel:DWORD
	v_fma_f16 v3, v30, v28, v3
	v_fma_f16 v2, v30, v2, -v4
	v_pack_b32_f16 v2, v3, v2
	v_add_u32_e32 v3, 0x800, v37
	ds_write2_b32 v3, v1, v2 offset0:16 offset1:104
	v_lshrrev_b32_e32 v1, 16, v29
	s_waitcnt vmcnt(14)
	v_mul_f16_sdwa v2, v32, v1 dst_sel:DWORD dst_unused:UNUSED_PAD src0_sel:WORD_1 src1_sel:DWORD
	v_mul_f16_sdwa v3, v32, v29 dst_sel:DWORD dst_unused:UNUSED_PAD src0_sel:WORD_1 src1_sel:DWORD
	v_fma_f16 v2, v32, v29, v2
	v_fma_f16 v1, v32, v1, -v3
	v_pack_b32_f16 v1, v2, v1
	v_lshrrev_b32_e32 v2, 16, v31
	s_waitcnt vmcnt(12)
	v_mul_f16_sdwa v3, v34, v2 dst_sel:DWORD dst_unused:UNUSED_PAD src0_sel:WORD_1 src1_sel:DWORD
	v_mul_f16_sdwa v4, v34, v31 dst_sel:DWORD dst_unused:UNUSED_PAD src0_sel:WORD_1 src1_sel:DWORD
	v_fma_f16 v3, v34, v31, v3
	v_fma_f16 v2, v34, v2, -v4
	v_pack_b32_f16 v2, v3, v2
	v_add_u32_e32 v3, 0xa00, v37
	ds_write2_b32 v3, v1, v2 offset0:64 offset1:152
	v_lshrrev_b32_e32 v1, 16, v33
	s_waitcnt vmcnt(11)
	v_mul_f16_sdwa v2, v38, v1 dst_sel:DWORD dst_unused:UNUSED_PAD src0_sel:WORD_1 src1_sel:DWORD
	v_mul_f16_sdwa v3, v38, v33 dst_sel:DWORD dst_unused:UNUSED_PAD src0_sel:WORD_1 src1_sel:DWORD
	v_fma_f16 v2, v38, v33, v2
	v_fma_f16 v1, v38, v1, -v3
	v_pack_b32_f16 v1, v2, v1
	s_waitcnt vmcnt(9)
	v_lshrrev_b32_e32 v2, 16, v35
	v_mul_f16_sdwa v3, v40, v2 dst_sel:DWORD dst_unused:UNUSED_PAD src0_sel:WORD_1 src1_sel:DWORD
	v_mul_f16_sdwa v4, v40, v35 dst_sel:DWORD dst_unused:UNUSED_PAD src0_sel:WORD_1 src1_sel:DWORD
	v_fma_f16 v3, v40, v35, v3
	v_fma_f16 v2, v40, v2, -v4
	v_pack_b32_f16 v2, v3, v2
	v_add_u32_e32 v3, 0xc00, v37
	ds_write2_b32 v3, v1, v2 offset0:112 offset1:200
	s_waitcnt vmcnt(8)
	v_lshrrev_b32_e32 v1, 16, v39
	s_waitcnt vmcnt(7)
	v_mul_f16_sdwa v2, v17, v1 dst_sel:DWORD dst_unused:UNUSED_PAD src0_sel:WORD_1 src1_sel:DWORD
	v_mul_f16_sdwa v3, v17, v39 dst_sel:DWORD dst_unused:UNUSED_PAD src0_sel:WORD_1 src1_sel:DWORD
	v_fma_f16 v2, v17, v39, v2
	v_fma_f16 v1, v17, v1, -v3
	v_pack_b32_f16 v1, v2, v1
	s_waitcnt vmcnt(6)
	v_lshrrev_b32_e32 v2, 16, v7
	s_waitcnt vmcnt(5)
	v_mul_f16_sdwa v3, v20, v2 dst_sel:DWORD dst_unused:UNUSED_PAD src0_sel:WORD_1 src1_sel:DWORD
	v_mul_f16_sdwa v4, v20, v7 dst_sel:DWORD dst_unused:UNUSED_PAD src0_sel:WORD_1 src1_sel:DWORD
	v_fma_f16 v3, v20, v7, v3
	v_fma_f16 v2, v20, v2, -v4
	v_pack_b32_f16 v2, v3, v2
	v_add_u32_e32 v3, 0x1000, v37
	ds_write2_b32 v3, v1, v2 offset0:32 offset1:120
	s_waitcnt vmcnt(4)
	v_lshrrev_b32_e32 v1, 16, v21
	s_waitcnt vmcnt(3)
	v_mul_f16_sdwa v2, v41, v1 dst_sel:DWORD dst_unused:UNUSED_PAD src0_sel:WORD_1 src1_sel:DWORD
	v_mul_f16_sdwa v3, v41, v21 dst_sel:DWORD dst_unused:UNUSED_PAD src0_sel:WORD_1 src1_sel:DWORD
	v_fma_f16 v2, v41, v21, v2
	v_fma_f16 v1, v41, v1, -v3
	v_pack_b32_f16 v1, v2, v1
	s_waitcnt vmcnt(2)
	v_lshrrev_b32_e32 v2, 16, v42
	s_waitcnt vmcnt(1)
	v_mul_f16_sdwa v3, v43, v2 dst_sel:DWORD dst_unused:UNUSED_PAD src0_sel:WORD_1 src1_sel:DWORD
	v_mul_f16_sdwa v4, v43, v42 dst_sel:DWORD dst_unused:UNUSED_PAD src0_sel:WORD_1 src1_sel:DWORD
	v_fma_f16 v3, v43, v42, v3
	v_fma_f16 v2, v43, v2, -v4
	v_pack_b32_f16 v2, v3, v2
	v_add_u32_e32 v3, 0x1200, v37
	ds_write2_b32 v3, v1, v2 offset0:80 offset1:168
	s_waitcnt vmcnt(0)
	v_lshrrev_b32_e32 v1, 16, v0
	v_mul_f16_sdwa v2, v22, v1 dst_sel:DWORD dst_unused:UNUSED_PAD src0_sel:WORD_1 src1_sel:DWORD
	v_fma_f16 v2, v22, v0, v2
	v_mul_f16_sdwa v0, v22, v0 dst_sel:DWORD dst_unused:UNUSED_PAD src0_sel:WORD_1 src1_sel:DWORD
	v_fma_f16 v0, v22, v1, -v0
	v_pack_b32_f16 v0, v2, v0
	ds_write_b32 v37, v0 offset:5632
.LBB0_3:
	s_or_b64 exec, exec, s[14:15]
	s_load_dwordx2 s[0:1], s[4:5], 0x20
	s_load_dwordx2 s[2:3], s[4:5], 0x8
	v_mov_b32_e32 v0, 0
	s_waitcnt lgkmcnt(0)
	s_barrier
	s_waitcnt lgkmcnt(0)
                                        ; implicit-def: $vgpr3
                                        ; implicit-def: $vgpr8
                                        ; implicit-def: $vgpr5
                                        ; implicit-def: $vgpr12
                                        ; implicit-def: $vgpr7
                                        ; implicit-def: $vgpr22
                                        ; implicit-def: $vgpr11
                                        ; implicit-def: $vgpr14
	s_and_saveexec_b64 s[4:5], vcc
	s_cbranch_execz .LBB0_5
; %bb.4:
	v_add_u32_e32 v2, 0x200, v37
	ds_read2_b32 v[10:11], v2 offset0:48 offset1:136
	v_add_u32_e32 v2, 0x400, v37
	ds_read2_b32 v[6:7], v2 offset0:96 offset1:184
	;; [unrolled: 2-line block ×3, first 2 shown]
	v_add_u32_e32 v2, 0xa00, v37
	v_add_u32_e32 v8, 0xc00, v37
	;; [unrolled: 1-line block ×4, first 2 shown]
	ds_read2_b32 v[0:1], v37 offset1:88
	ds_read2_b32 v[2:3], v2 offset0:64 offset1:152
	ds_read2_b32 v[8:9], v8 offset0:112 offset1:200
	;; [unrolled: 1-line block ×4, first 2 shown]
	ds_read_b32 v14, v37 offset:5632
.LBB0_5:
	s_or_b64 exec, exec, s[4:5]
	s_waitcnt lgkmcnt(0)
	v_pk_add_f16 v21, v1, v14 neg_lo:[0,1] neg_hi:[0,1]
	s_mov_b32 s10, 0xb964
	v_pk_add_f16 v26, v14, v1
	s_movk_i32 s8, 0x39e9
	v_mul_f16_sdwa v20, v21, s10 dst_sel:DWORD dst_unused:UNUSED_PAD src0_sel:WORD_1 src1_sel:DWORD
	s_mov_b32 s15, 0xbb29
	s_mov_b32 s14, 0xbbf7
	v_pk_add_f16 v33, v10, v23 neg_lo:[0,1] neg_hi:[0,1]
	v_fma_f16 v16, v26, s8, v20
	s_movk_i32 s4, 0x3722
	v_mul_f16_sdwa v24, v21, s15 dst_sel:DWORD dst_unused:UNUSED_PAD src0_sel:WORD_1 src1_sel:DWORD
	s_movk_i32 s5, 0x2de8
	s_mov_b32 s11, 0xba62
	v_pk_add_f16 v28, v23, v10
	v_mul_f16_sdwa v25, v33, s14 dst_sel:DWORD dst_unused:UNUSED_PAD src0_sel:WORD_1 src1_sel:DWORD
	v_fma_f16 v17, v26, s4, v24
	s_mov_b32 s9, 0xb8d2
	v_fma_f16 v18, v28, s5, v25
	v_add_f16_e32 v16, v16, v0
	v_mul_f16_sdwa v29, v33, s11 dst_sel:DWORD dst_unused:UNUSED_PAD src0_sel:WORD_1 src1_sel:DWORD
	v_pk_add_f16 v34, v11, v22 neg_lo:[0,1] neg_hi:[0,1]
	v_add_f16_e32 v16, v18, v16
	v_add_f16_e32 v17, v17, v0
	v_fma_f16 v18, v28, s9, v29
	v_pk_add_f16 v70, v22, v11
	v_mul_f16_sdwa v27, v34, s11 dst_sel:DWORD dst_unused:UNUSED_PAD src0_sel:WORD_1 src1_sel:DWORD
	s_movk_i32 s17, 0x31e1
	v_add_f16_e32 v17, v18, v17
	v_fma_f16 v18, v70, s9, v27
	s_mov_b32 s16, 0xbbdd
	v_mul_f16_sdwa v31, v34, s17 dst_sel:DWORD dst_unused:UNUSED_PAD src0_sel:WORD_1 src1_sel:DWORD
	s_mov_b32 s19, 0xb1e1
	v_pk_add_f16 v35, v6, v13 neg_lo:[0,1] neg_hi:[0,1]
	v_add_f16_e32 v16, v18, v16
	v_fma_f16 v18, v70, s16, v31
	v_pk_add_f16 v75, v13, v6
	v_mul_f16_sdwa v30, v35, s19 dst_sel:DWORD dst_unused:UNUSED_PAD src0_sel:WORD_1 src1_sel:DWORD
	s_movk_i32 s21, 0x3bb2
	v_add_f16_e32 v17, v18, v17
	v_fma_f16 v18, v75, s16, v30
	s_mov_b32 s18, 0xb461
	v_mul_f16_sdwa v48, v35, s21 dst_sel:DWORD dst_unused:UNUSED_PAD src0_sel:WORD_1 src1_sel:DWORD
	s_movk_i32 s27, 0x3836
	v_pk_add_f16 v38, v7, v12 neg_lo:[0,1] neg_hi:[0,1]
	v_add_f16_e32 v16, v18, v16
	v_fma_f16 v18, v75, s18, v48
	s_mov_b32 s20, 0xbacd
	v_pk_add_f16 v83, v12, v7
	v_mul_f16_sdwa v32, v38, s27 dst_sel:DWORD dst_unused:UNUSED_PAD src0_sel:WORD_1 src1_sel:DWORD
	s_movk_i32 s22, 0x3964
	v_add_f16_e32 v17, v18, v17
	v_fma_f16 v18, v83, s20, v32
	v_mul_f16_sdwa v50, v38, s22 dst_sel:DWORD dst_unused:UNUSED_PAD src0_sel:WORD_1 src1_sel:DWORD
	v_pk_add_f16 v39, v4, v9 neg_lo:[0,1] neg_hi:[0,1]
	v_add_f16_e32 v16, v18, v16
	v_fma_f16 v18, v83, s8, v50
	v_pk_add_f16 v85, v9, v4
	v_mul_f16_sdwa v46, v39, s21 dst_sel:DWORD dst_unused:UNUSED_PAD src0_sel:WORD_1 src1_sel:DWORD
	s_mov_b32 s26, 0xb5c8
	v_add_f16_e32 v17, v18, v17
	v_fma_f16 v18, v85, s18, v46
	s_movk_i32 s23, 0x3b76
	v_mul_f16_sdwa v52, v39, s26 dst_sel:DWORD dst_unused:UNUSED_PAD src0_sel:WORD_1 src1_sel:DWORD
	s_movk_i32 s17, 0x3b29
	v_pk_add_f16 v40, v5, v8 neg_lo:[0,1] neg_hi:[0,1]
	v_add_f16_e32 v16, v18, v16
	v_fma_f16 v18, v85, s23, v52
	v_pk_add_f16 v90, v8, v5
	v_mul_f16_sdwa v49, v40, s17 dst_sel:DWORD dst_unused:UNUSED_PAD src0_sel:WORD_1 src1_sel:DWORD
	v_add_f16_e32 v17, v18, v17
	v_fma_f16 v18, v90, s4, v49
	v_mul_f16_sdwa v53, v40, s14 dst_sel:DWORD dst_unused:UNUSED_PAD src0_sel:WORD_1 src1_sel:DWORD
	s_movk_i32 s28, 0x35c8
	v_pk_add_f16 v165, v2, v3 neg_lo:[0,1] neg_hi:[0,1]
	v_add_f16_e32 v16, v18, v16
	v_fma_f16 v18, v90, s5, v53
	s_mov_b32 s25, 0xb836
	v_pk_add_f16 v87, v3, v2
	v_mul_f16_sdwa v51, v165, s28 dst_sel:DWORD dst_unused:UNUSED_PAD src0_sel:WORD_1 src1_sel:DWORD
	v_add_f16_e32 v18, v18, v17
	v_fma_f16 v17, v87, s23, v51
	v_mul_f16_sdwa v54, v165, s25 dst_sel:DWORD dst_unused:UNUSED_PAD src0_sel:WORD_1 src1_sel:DWORD
	v_add_f16_e32 v17, v17, v16
	v_fma_f16 v16, v87, s20, v54
	;; [unrolled: 3-line block ×3, first 2 shown]
	v_mul_f16_sdwa v60, v33, s19 dst_sel:DWORD dst_unused:UNUSED_PAD src0_sel:WORD_1 src1_sel:DWORD
	s_mov_b32 s24, 0xbbb2
	v_add_f16_e32 v18, v18, v0
	v_fma_f16 v19, v28, s16, v60
	v_mul_f16_sdwa v71, v21, s24 dst_sel:DWORD dst_unused:UNUSED_PAD src0_sel:WORD_1 src1_sel:DWORD
	v_add_f16_e32 v18, v19, v18
	v_fma_f16 v19, v26, s18, v71
	v_mul_f16_sdwa v72, v33, s27 dst_sel:DWORD dst_unused:UNUSED_PAD src0_sel:WORD_1 src1_sel:DWORD
	;; [unrolled: 3-line block ×9, first 2 shown]
	s_movk_i32 s28, 0x3bf7
	v_add_f16_e32 v19, v41, v19
	v_fma_f16 v41, v85, s20, v66
	v_mul_f16_sdwa v79, v39, s28 dst_sel:DWORD dst_unused:UNUSED_PAD src0_sel:WORD_1 src1_sel:DWORD
	s_movk_i32 s29, 0x3a62
	v_add_f16_e32 v18, v41, v18
	v_fma_f16 v41, v85, s5, v79
	v_mul_f16_sdwa v68, v40, s29 dst_sel:DWORD dst_unused:UNUSED_PAD src0_sel:WORD_1 src1_sel:DWORD
	v_add_f16_e32 v19, v41, v19
	v_fma_f16 v41, v90, s9, v68
	v_mul_f16_sdwa v82, v40, s26 dst_sel:DWORD dst_unused:UNUSED_PAD src0_sel:WORD_1 src1_sel:DWORD
	;; [unrolled: 3-line block ×6, first 2 shown]
	v_add_f16_e32 v41, v41, v0
	v_fma_f16 v42, v28, s8, v56
	v_lshrrev_b32_e32 v140, 16, v26
	v_mul_f16_e32 v57, 0xb5c8, v21
	v_add_f16_e32 v41, v42, v41
	v_fma_f16 v42, v140, s23, -v57
	v_lshrrev_b32_e32 v136, 16, v28
	v_mul_f16_e32 v58, 0xb964, v33
	v_add_f16_sdwa v42, v42, v0 dst_sel:DWORD dst_unused:UNUSED_PAD src0_sel:DWORD src1_sel:WORD_1
	v_fma_f16 v43, v136, s8, -v58
	v_mul_f16_e32 v64, 0xb964, v21
	v_add_f16_e32 v42, v43, v42
	v_fma_f16 v43, v140, s8, -v64
	v_mul_f16_e32 v65, 0xbbf7, v33
	v_add_f16_sdwa v43, v43, v0 dst_sel:DWORD dst_unused:UNUSED_PAD src0_sel:DWORD src1_sel:WORD_1
	v_fma_f16 v44, v136, s5, -v65
	v_mul_f16_e32 v78, 0xbb29, v21
	v_add_f16_e32 v43, v44, v43
	v_fma_f16 v44, v140, s4, -v78
	;; [unrolled: 6-line block ×4, first 2 shown]
	v_mul_f16_e32 v98, 0x3836, v33
	v_add_f16_sdwa v47, v47, v0 dst_sel:DWORD dst_unused:UNUSED_PAD src0_sel:DWORD src1_sel:WORD_1
	v_fma_f16 v67, v136, s20, -v98
	v_mul_f16_sdwa v103, v21, s11 dst_sel:DWORD dst_unused:UNUSED_PAD src0_sel:WORD_1 src1_sel:DWORD
	v_add_f16_e32 v47, v67, v47
	v_fma_f16 v67, v26, s9, v103
	v_mul_f16_sdwa v104, v33, s21 dst_sel:DWORD dst_unused:UNUSED_PAD src0_sel:WORD_1 src1_sel:DWORD
	v_add_f16_e32 v67, v67, v0
	v_fma_f16 v74, v28, s18, v104
	v_mul_f16_e32 v106, 0xba62, v21
	v_add_f16_e32 v81, v74, v67
	v_fma_f16 v67, v140, s9, -v106
	v_mul_f16_e32 v107, 0x3bb2, v33
	v_add_f16_sdwa v67, v67, v0 dst_sel:DWORD dst_unused:UNUSED_PAD src0_sel:DWORD src1_sel:WORD_1
	v_fma_f16 v74, v136, s18, -v107
	v_mul_f16_sdwa v123, v21, s25 dst_sel:DWORD dst_unused:UNUSED_PAD src0_sel:WORD_1 src1_sel:DWORD
	v_add_f16_e32 v86, v74, v67
	v_fma_f16 v67, v26, s20, v123
	v_mul_f16_sdwa v121, v33, s17 dst_sel:DWORD dst_unused:UNUSED_PAD src0_sel:WORD_1 src1_sel:DWORD
	s_mov_b32 s27, 0xb1e1b836
	v_add_f16_e32 v67, v67, v0
	v_fma_f16 v74, v28, s4, v121
	s_mov_b32 s21, 0xbacdbbdd
	v_pk_mul_f16 v125, v21, s27
	s_mov_b32 s30, 0x35c83b29
	v_add_f16_e32 v89, v74, v67
	v_pk_fma_f16 v67, v26, s21, v125 op_sel:[0,0,1] op_sel_hi:[1,1,0] neg_lo:[0,0,1] neg_hi:[0,0,1]
	s_mov_b32 s27, 0x37223b76
	v_pk_mul_f16 v124, v33, s30
	v_mul_f16_e32 v21, 0xb1e1, v21
	v_pk_add_f16 v67, v67, v0
	v_pk_fma_f16 v74, v28, s27, v124 op_sel:[0,0,1] op_sel_hi:[1,1,0] neg_lo:[0,0,1] neg_hi:[0,0,1]
	v_mul_f16_e32 v127, 0x35c8, v33
	v_fma_f16 v33, v140, s16, -v21
	v_pk_add_f16 v93, v74, v67
	v_add_f16_sdwa v33, v33, v0 dst_sel:DWORD dst_unused:UNUSED_PAD src0_sel:DWORD src1_sel:WORD_1
	v_fma_f16 v67, v136, s23, -v127
	v_add_f16_e32 v33, v67, v33
	v_mul_f16_sdwa v67, v34, s15 dst_sel:DWORD dst_unused:UNUSED_PAD src0_sel:WORD_1 src1_sel:DWORD
	v_fma_f16 v74, v70, s4, v67
	v_add_f16_e32 v41, v74, v41
	v_lshrrev_b32_e32 v149, 16, v70
	v_mul_f16_e32 v74, 0xbb29, v34
	v_fma_f16 v88, v149, s4, -v74
	v_add_f16_e32 v42, v88, v42
	v_mul_f16_e32 v88, 0xba62, v34
	v_fma_f16 v94, v149, s9, -v88
	v_mul_f16_e32 v95, 0x31e1, v34
	v_add_f16_e32 v43, v94, v43
	v_fma_f16 v94, v149, s16, -v95
	v_mul_f16_e32 v102, 0x3bb2, v34
	v_add_f16_e32 v44, v94, v44
	;; [unrolled: 3-line block ×3, first 2 shown]
	v_fma_f16 v94, v149, s8, -v113
	v_mul_f16_sdwa v115, v34, s26 dst_sel:DWORD dst_unused:UNUSED_PAD src0_sel:WORD_1 src1_sel:DWORD
	v_add_f16_e32 v47, v94, v47
	v_fma_f16 v94, v70, s23, v115
	v_mul_f16_e32 v122, 0xb5c8, v34
	v_add_f16_e32 v96, v94, v81
	v_fma_f16 v81, v149, s23, -v122
	v_mul_f16_sdwa v133, v34, s14 dst_sel:DWORD dst_unused:UNUSED_PAD src0_sel:WORD_1 src1_sel:DWORD
	s_mov_b32 s30, 0xb836bbf7
	v_add_f16_e32 v99, v81, v86
	v_fma_f16 v81, v70, s5, v133
	s_mov_b32 s15, 0x2de8bacd
	v_pk_mul_f16 v134, v34, s30
	v_add_f16_e32 v89, v81, v89
	v_pk_fma_f16 v81, v70, s15, v134 op_sel:[0,0,1] op_sel_hi:[1,1,0] neg_lo:[0,0,1] neg_hi:[0,0,1]
	v_mul_f16_e32 v167, 0xb836, v34
	v_pk_add_f16 v93, v81, v93
	v_fma_f16 v34, v149, s20, -v167
	v_mul_f16_sdwa v81, v35, s14 dst_sel:DWORD dst_unused:UNUSED_PAD src0_sel:WORD_1 src1_sel:DWORD
	v_add_f16_e32 v33, v34, v33
	v_fma_f16 v34, v75, s5, v81
	v_lshrrev_b32_e32 v153, 16, v75
	v_mul_f16_e32 v86, 0xbbf7, v35
	v_add_f16_e32 v34, v34, v41
	v_fma_f16 v41, v153, s5, -v86
	v_mul_f16_e32 v94, 0xb1e1, v35
	v_add_f16_e32 v41, v41, v42
	v_fma_f16 v42, v153, s16, -v94
	;; [unrolled: 3-line block ×5, first 2 shown]
	v_mul_f16_sdwa v126, v35, s25 dst_sel:DWORD dst_unused:UNUSED_PAD src0_sel:WORD_1 src1_sel:DWORD
	v_add_f16_e32 v45, v45, v47
	v_fma_f16 v47, v75, s20, v126
	v_mul_f16_e32 v132, 0xb836, v35
	v_add_f16_e32 v47, v47, v96
	v_fma_f16 v96, v153, s20, -v132
	v_mul_f16_sdwa v137, v35, s29 dst_sel:DWORD dst_unused:UNUSED_PAD src0_sel:WORD_1 src1_sel:DWORD
	s_mov_b32 s29, 0x39643a62
	v_add_f16_e32 v96, v96, v99
	v_fma_f16 v99, v75, s9, v137
	s_mov_b32 s14, 0xb8d239e9
	v_pk_mul_f16 v143, v35, s29
	v_add_f16_e32 v99, v99, v89
	v_pk_fma_f16 v89, v75, s14, v143 op_sel:[0,0,1] op_sel_hi:[1,1,0] neg_lo:[0,0,1] neg_hi:[0,0,1]
	v_mul_f16_e32 v35, 0x3964, v35
	v_pk_add_f16 v105, v89, v93
	v_fma_f16 v89, v153, s8, -v35
	v_add_f16_e32 v33, v89, v33
	v_mul_f16_sdwa v89, v38, s24 dst_sel:DWORD dst_unused:UNUSED_PAD src0_sel:WORD_1 src1_sel:DWORD
	v_fma_f16 v93, v83, s18, v89
	v_add_f16_e32 v34, v93, v34
	v_lshrrev_b32_e32 v157, 16, v83
	v_mul_f16_e32 v93, 0xbbb2, v38
	v_fma_f16 v100, v157, s18, -v93
	v_add_f16_e32 v41, v100, v41
	v_mul_f16_e32 v100, 0x3836, v38
	v_fma_f16 v108, v157, s20, -v100
	v_mul_f16_e32 v110, 0x3964, v38
	v_add_f16_e32 v42, v108, v42
	v_fma_f16 v108, v157, s8, -v110
	v_mul_f16_e32 v119, 0xbb29, v38
	v_add_f16_e32 v43, v108, v43
	;; [unrolled: 3-line block ×3, first 2 shown]
	v_fma_f16 v108, v157, s16, -v131
	v_mul_f16_sdwa v135, v38, s28 dst_sel:DWORD dst_unused:UNUSED_PAD src0_sel:WORD_1 src1_sel:DWORD
	v_add_f16_e32 v45, v108, v45
	v_fma_f16 v108, v83, s5, v135
	v_mul_f16_e32 v142, 0x3bf7, v38
	v_add_f16_e32 v47, v108, v47
	v_fma_f16 v108, v157, s5, -v142
	v_mul_f16_sdwa v145, v38, s26 dst_sel:DWORD dst_unused:UNUSED_PAD src0_sel:WORD_1 src1_sel:DWORD
	s_mov_b32 s28, 0xba62b5c8
	v_add_f16_e32 v108, v108, v96
	v_fma_f16 v96, v83, s23, v145
	s_mov_b32 s26, 0x3b76b8d2
	v_pk_mul_f16 v150, v38, s28
	v_add_f16_e32 v112, v96, v99
	v_pk_fma_f16 v96, v83, s26, v150 op_sel:[0,0,1] op_sel_hi:[1,1,0] neg_lo:[0,0,1] neg_hi:[0,0,1]
	v_mul_f16_e32 v38, 0xba62, v38
	v_pk_add_f16 v105, v96, v105
	v_fma_f16 v96, v157, s9, -v38
	v_add_f16_e32 v33, v96, v33
	v_mul_f16_sdwa v96, v39, s11 dst_sel:DWORD dst_unused:UNUSED_PAD src0_sel:WORD_1 src1_sel:DWORD
	v_fma_f16 v99, v85, s9, v96
	v_add_f16_e32 v34, v99, v34
	v_lshrrev_b32_e32 v160, 16, v85
	v_mul_f16_e32 v99, 0xba62, v39
	v_fma_f16 v109, v160, s9, -v99
	v_add_f16_e32 v41, v109, v41
	v_mul_f16_e32 v109, 0x3bb2, v39
	v_fma_f16 v114, v160, s18, -v109
	v_mul_f16_e32 v118, 0xb5c8, v39
	v_add_f16_e32 v42, v114, v42
	v_fma_f16 v114, v160, s23, -v118
	v_mul_f16_e32 v130, 0xb836, v39
	v_add_f16_e32 v43, v114, v43
	;; [unrolled: 3-line block ×3, first 2 shown]
	v_fma_f16 v114, v160, s5, -v141
	v_mul_f16_sdwa v144, v39, s10 dst_sel:DWORD dst_unused:UNUSED_PAD src0_sel:WORD_1 src1_sel:DWORD
	v_add_f16_e32 v45, v114, v45
	v_fma_f16 v114, v85, s8, v144
	v_mul_f16_e32 v148, 0xb964, v39
	v_add_f16_e32 v47, v114, v47
	v_fma_f16 v114, v160, s8, -v148
	v_mul_f16_sdwa v152, v39, s19 dst_sel:DWORD dst_unused:UNUSED_PAD src0_sel:WORD_1 src1_sel:DWORD
	s_mov_b32 s11, 0x3b29b1e1
	v_add_f16_e32 v114, v114, v108
	v_fma_f16 v108, v85, s16, v152
	s_mov_b32 s10, 0xbbdd3722
	v_pk_mul_f16 v156, v39, s11
	v_add_f16_e32 v112, v108, v112
	v_pk_fma_f16 v108, v85, s10, v156 op_sel:[0,0,1] op_sel_hi:[1,1,0] neg_lo:[0,0,1] neg_hi:[0,0,1]
	v_mul_f16_e32 v171, 0x3b29, v39
	v_pk_add_f16 v116, v108, v105
	v_fma_f16 v39, v160, s4, -v171
	v_mul_f16_sdwa v105, v40, s25 dst_sel:DWORD dst_unused:UNUSED_PAD src0_sel:WORD_1 src1_sel:DWORD
	v_add_f16_e32 v33, v39, v33
	v_fma_f16 v39, v90, s20, v105
	v_lshrrev_b32_e32 v163, 16, v90
	v_mul_f16_e32 v108, 0xb836, v40
	v_add_f16_e32 v34, v39, v34
	v_fma_f16 v39, v163, s20, -v108
	v_mul_f16_e32 v117, 0x3b29, v40
	v_add_f16_e32 v39, v39, v41
	v_fma_f16 v41, v163, s4, -v117
	v_mul_f16_e32 v129, 0xbbf7, v40
	v_add_f16_e32 v41, v41, v42
	v_fma_f16 v42, v163, s5, -v129
	v_mul_f16_e32 v139, 0x3a62, v40
	v_add_f16_e32 v43, v42, v43
	v_fma_f16 v42, v163, s9, -v139
	v_mul_f16_e32 v147, 0xb5c8, v40
	v_add_f16_e32 v44, v42, v44
	v_fma_f16 v42, v163, s23, -v147
	v_mul_f16_sdwa v151, v40, s19 dst_sel:DWORD dst_unused:UNUSED_PAD src0_sel:WORD_1 src1_sel:DWORD
	v_add_f16_e32 v45, v42, v45
	v_fma_f16 v42, v90, s16, v151
	v_mul_f16_e32 v155, 0xb1e1, v40
	v_add_f16_e32 v172, v42, v47
	v_fma_f16 v42, v163, s16, -v155
	v_mul_f16_sdwa v158, v40, s22 dst_sel:DWORD dst_unused:UNUSED_PAD src0_sel:WORD_1 src1_sel:DWORD
	s_mov_b32 s22, 0xbbb23964
	v_add_f16_e32 v47, v42, v114
	v_fma_f16 v42, v90, s8, v158
	s_mov_b32 s11, 0x39e9b461
	v_pk_mul_f16 v161, v40, s22
	v_mul_f16_e32 v173, 0xbbb2, v40
	v_add_f16_e32 v164, v42, v112
	v_pk_fma_f16 v42, v90, s11, v161 op_sel:[0,0,1] op_sel_hi:[1,1,0] neg_lo:[0,0,1] neg_hi:[0,0,1]
	v_fma_f16 v40, v163, s18, -v173
	v_mul_f16_sdwa v114, v165, s19 dst_sel:DWORD dst_unused:UNUSED_PAD src0_sel:WORD_1 src1_sel:DWORD
	v_pk_add_f16 v166, v42, v116
	v_add_f16_e32 v174, v40, v33
	v_fma_f16 v33, v87, s16, v114
	v_lshrrev_b32_e32 v162, 16, v87
	v_mul_f16_e32 v116, 0xb1e1, v165
	v_add_f16_e32 v42, v33, v34
	v_fma_f16 v33, v162, s16, -v116
	v_mul_f16_e32 v128, 0x35c8, v165
	v_add_f16_e32 v39, v33, v39
	v_fma_f16 v33, v162, s23, -v128
	;; [unrolled: 3-line block ×6, first 2 shown]
	v_mul_f16_sdwa v112, v165, s24 dst_sel:DWORD dst_unused:UNUSED_PAD src0_sel:WORD_1 src1_sel:DWORD
	v_add_f16_e32 v43, v33, v47
	v_fma_f16 v33, v87, s18, v112
	s_mov_b32 s8, 0x3bf7bbb2
	v_pk_fma_f16 v47, v26, s21, v125 op_sel:[0,0,1] op_sel_hi:[1,1,0]
	v_add_f16_e32 v33, v33, v164
	v_pk_mul_f16 v164, v165, s8
	v_pack_b32_f16 v47, v127, v47
	s_mov_b32 s8, 0x5040100
	v_mul_f16_e32 v127, 0x3b76, v136
	s_mov_b32 s18, 0xb4612de8
	v_perm_b32 v127, v0, v127, s8
	v_fma_f16 v21, v140, s16, v21
	v_pk_mul_f16 v170, v28, s27
	s_mov_b32 s9, 0x7060302
	v_pk_fma_f16 v34, v87, s18, v164 op_sel:[0,0,1] op_sel_hi:[1,1,0] neg_lo:[0,0,1] neg_hi:[0,0,1]
	v_pk_add_f16 v47, v47, v127
	v_pack_b32_f16 v21, v21, v170
	v_perm_b32 v127, v124, v0, s9
	v_pk_add_f16 v34, v34, v166
	v_pk_add_f16 v21, v21, v127
	v_pk_mul_f16 v166, v70, s15
	s_mov_b32 s9, 0xffff
	v_mul_f16_e32 v127, 0xbacd, v149
	v_pk_add_f16 v21, v21, v47
	v_pack_b32_f16 v47, v167, v166
	v_bfi_b32 v127, s9, v127, v134
	v_pk_add_f16 v47, v47, v127
	v_pk_add_f16 v21, v47, v21
	v_pk_mul_f16 v167, v75, s14
	v_mul_f16_e32 v47, 0x39e9, v153
	v_pack_b32_f16 v35, v35, v167
	v_bfi_b32 v47, s9, v47, v143
	v_pk_add_f16 v35, v35, v47
	v_pk_mul_f16 v168, v83, s26
	v_pk_add_f16 v21, v35, v21
	v_pack_b32_f16 v35, v38, v168
	v_mul_f16_e32 v38, 0xb8d2, v157
	v_bfi_b32 v38, s9, v38, v150
	v_pk_add_f16 v35, v35, v38
	v_pk_mul_f16 v169, v85, s10
	v_mul_f16_e32 v38, 0x3722, v160
	v_pk_add_f16 v21, v35, v21
	v_pack_b32_f16 v35, v171, v169
	v_bfi_b32 v38, s9, v38, v156
	v_pk_add_f16 v35, v35, v38
	v_pk_mul_f16 v171, v90, s11
	v_mul_f16_e32 v38, 0xb461, v163
	v_pk_add_f16 v21, v35, v21
	v_pack_b32_f16 v35, v173, v171
	v_bfi_b32 v38, s9, v38, v161
	v_pk_add_f16 v35, v35, v38
	v_pk_add_f16 v21, v35, v21
	v_mul_f16_e32 v35, 0x2de8, v162
	v_pk_mul_f16 v127, v87, s18
	v_mul_f16_e32 v38, 0x3bf7, v165
	v_bfi_b32 v35, s9, v35, v164
	v_pack_b32_f16 v47, v38, v127
	v_pk_add_f16 v35, v47, v35
	v_pk_add_f16 v35, v35, v21
	v_fma_f16 v21, v162, s5, -v38
	v_mul_f16_sdwa v165, v165, s17 dst_sel:DWORD dst_unused:UNUSED_PAD src0_sel:WORD_1 src1_sel:DWORD
	v_add_f16_e32 v47, v21, v174
	v_fma_f16 v21, v87, s4, v165
	v_add_f16_e32 v21, v21, v172
	v_mul_lo_u16_e32 v38, 17, v36
	s_barrier
	s_and_saveexec_b64 s[4:5], vcc
	s_cbranch_execz .LBB0_7
; %bb.6:
	v_mul_f16_e32 v174, 0x39e9, v26
	v_mul_f16_e32 v186, 0x2de8, v28
	v_sub_f16_e32 v20, v174, v20
	v_mul_f16_e32 v197, 0xb8d2, v70
	v_add_f16_e32 v20, v20, v0
	v_sub_f16_e32 v25, v186, v25
	v_mul_f16_e32 v208, 0xbbdd, v75
	v_add_f16_e32 v20, v25, v20
	;; [unrolled: 3-line block ×7, first 2 shown]
	v_sub_f16_e32 v25, v252, v51
	v_mul_f16_e32 v176, 0x3722, v26
	v_mul_f16_e32 v178, 0x2de8, v26
	;; [unrolled: 1-line block ×3, first 2 shown]
	v_add_f16_e32 v20, v25, v20
	v_add_f16_e32 v25, v57, v173
	v_mul_f16_e32 v180, 0xb461, v26
	v_mul_f16_e32 v188, 0xb8d2, v28
	;; [unrolled: 1-line block ×4, first 2 shown]
	v_sub_f16_e32 v59, v178, v59
	v_sub_f16_e32 v24, v176, v24
	v_add_f16_sdwa v25, v25, v0 dst_sel:DWORD dst_unused:UNUSED_PAD src0_sel:DWORD src1_sel:WORD_1
	v_add_f16_e32 v27, v58, v185
	v_mul_f16_e32 v192, 0xbacd, v28
	v_mul_f16_e32 v199, 0xbbdd, v70
	;; [unrolled: 1-line block ×4, first 2 shown]
	v_sub_f16_e32 v71, v180, v71
	v_add_f16_e32 v59, v59, v0
	v_sub_f16_e32 v60, v190, v60
	v_add_f16_e32 v24, v24, v0
	;; [unrolled: 2-line block ×3, first 2 shown]
	v_add_f16_e32 v27, v74, v196
	v_pk_add_f16 v1, v1, v0
	v_mul_f16_e32 v203, 0x39e9, v70
	v_mul_f16_e32 v210, 0xb461, v75
	;; [unrolled: 1-line block ×4, first 2 shown]
	v_add_f16_e32 v71, v71, v0
	v_sub_f16_e32 v72, v192, v72
	v_add_f16_e32 v59, v60, v59
	v_sub_f16_e32 v60, v201, v61
	;; [unrolled: 2-line block ×3, first 2 shown]
	v_add_f16_e32 v25, v27, v25
	v_add_f16_e32 v27, v86, v207
	v_pk_add_f16 v1, v10, v1
	v_mul_f16_e32 v172, 0x3b76, v26
	v_mul_f16_e32 v182, 0xb8d2, v26
	;; [unrolled: 1-line block ×7, first 2 shown]
	v_pk_mul_f16 v26, v26, s21
	v_add_f16_e32 v71, v72, v71
	v_sub_f16_e32 v72, v203, v73
	v_add_f16_e32 v59, v60, v59
	v_sub_f16_e32 v60, v212, v62
	v_add_f16_e32 v24, v29, v24
	v_sub_f16_e32 v29, v210, v48
	v_add_f16_e32 v25, v27, v25
	v_add_f16_e32 v27, v93, v218
	v_pk_add_f16 v1, v11, v1
	v_mul_f16_e32 v225, 0xbbdd, v83
	v_mul_f16_e32 v232, 0x3b76, v85
	;; [unrolled: 1-line block ×4, first 2 shown]
	v_bfi_b32 v123, s9, v123, v26
	v_alignbit_b32 v125, v125, v125, 16
	v_add_f16_e32 v71, v72, v71
	v_sub_f16_e32 v72, v214, v76
	v_add_f16_e32 v59, v60, v59
	v_sub_f16_e32 v60, v223, v63
	;; [unrolled: 2-line block ×3, first 2 shown]
	v_add_f16_e32 v25, v27, v25
	v_add_f16_e32 v27, v99, v229
	v_pk_add_f16 v1, v6, v1
	v_mul_f16_e32 v236, 0x2de8, v85
	v_mul_f16_e32 v243, 0x2de8, v90
	;; [unrolled: 1-line block ×4, first 2 shown]
	v_pk_add_f16 v123, v183, v123 neg_lo:[0,1] neg_hi:[0,1]
	v_pk_add_f16 v26, v125, v26
	v_add_f16_e32 v71, v72, v71
	v_sub_f16_e32 v72, v225, v77
	v_add_f16_e32 v59, v60, v59
	v_sub_f16_e32 v60, v234, v66
	;; [unrolled: 2-line block ×3, first 2 shown]
	v_add_f16_e32 v25, v27, v25
	v_add_f16_e32 v27, v108, v240
	v_pk_add_f16 v1, v7, v1
	v_mul_f16_e32 v247, 0x3b76, v90
	v_mul_f16_e32 v183, 0xbacd, v87
	v_bfi_b32 v26, s9, v123, v26
	v_mul_f16_e32 v123, 0x39e9, v87
	v_alignbit_b32 v124, v124, v124, 16
	v_add_f16_e32 v71, v72, v71
	v_sub_f16_e32 v72, v236, v79
	v_add_f16_e32 v59, v60, v59
	v_sub_f16_e32 v60, v245, v68
	;; [unrolled: 2-line block ×3, first 2 shown]
	v_add_f16_e32 v25, v27, v25
	v_add_f16_e32 v27, v116, v251
	v_pk_add_f16 v1, v4, v1
	v_mul_f16_e32 v175, 0x39e9, v140
	v_mul_f16_e32 v177, 0x3722, v140
	;; [unrolled: 1-line block ×3, first 2 shown]
	v_bfi_b32 v121, s9, v121, v170
	v_pk_add_f16 v124, v124, v170
	v_mul_f16_e32 v170, 0xb8d2, v87
	v_add_f16_e32 v71, v72, v71
	v_sub_f16_e32 v72, v247, v82
	v_add_f16_e32 v59, v60, v59
	v_sub_f16_e32 v60, v123, v69
	;; [unrolled: 2-line block ×4, first 2 shown]
	v_pk_add_f16 v1, v5, v1
	v_mul_f16_e32 v179, 0x2de8, v140
	v_mul_f16_e32 v181, 0xb461, v140
	;; [unrolled: 1-line block ×5, first 2 shown]
	v_add_f16_e32 v71, v72, v71
	v_sub_f16_e32 v72, v170, v84
	v_add_f16_e32 v59, v60, v59
	v_add_f16_e32 v60, v78, v177
	;; [unrolled: 1-line block ×5, first 2 shown]
	v_sub_f16_e32 v30, v184, v56
	v_pk_add_f16 v1, v2, v1
	v_mul_f16_e32 v191, 0xbbdd, v136
	v_mul_f16_e32 v193, 0xbacd, v136
	;; [unrolled: 1-line block ×5, first 2 shown]
	v_add_f16_e32 v97, v97, v181
	v_add_f16_e32 v71, v72, v71
	;; [unrolled: 1-line block ×3, first 2 shown]
	v_add_f16_sdwa v60, v60, v0 dst_sel:DWORD dst_unused:UNUSED_PAD src0_sel:DWORD src1_sel:WORD_1
	v_add_f16_e32 v61, v80, v189
	v_add_f16_sdwa v29, v29, v0 dst_sel:DWORD dst_unused:UNUSED_PAD src0_sel:DWORD src1_sel:WORD_1
	v_add_f16_e32 v31, v65, v187
	v_add_f16_e32 v27, v30, v27
	v_sub_f16_e32 v30, v195, v67
	v_pk_add_f16 v1, v3, v1
	v_mul_f16_e32 v202, 0xb461, v149
	v_mul_f16_e32 v204, 0x39e9, v149
	;; [unrolled: 1-line block ×7, first 2 shown]
	v_bfi_b32 v133, s9, v133, v166
	v_alignbit_b32 v134, v134, v134, 16
	v_add_f16_sdwa v97, v97, v0 dst_sel:DWORD dst_unused:UNUSED_PAD src0_sel:DWORD src1_sel:WORD_1
	v_add_f16_e32 v98, v98, v193
	v_add_f16_sdwa v72, v72, v0 dst_sel:DWORD dst_unused:UNUSED_PAD src0_sel:DWORD src1_sel:WORD_1
	v_add_f16_e32 v73, v92, v191
	v_add_f16_e32 v60, v61, v60
	;; [unrolled: 1-line block ×6, first 2 shown]
	v_sub_f16_e32 v30, v206, v81
	v_pk_add_f16 v1, v8, v1
	v_mul_f16_e32 v213, 0x3b76, v153
	v_mul_f16_e32 v215, 0x3722, v153
	;; [unrolled: 1-line block ×5, first 2 shown]
	v_pk_add_f16 v70, v70, v133 neg_lo:[0,1] neg_hi:[0,1]
	v_pk_add_f16 v134, v134, v166
	v_add_f16_e32 v97, v98, v97
	v_add_f16_e32 v98, v113, v204
	;; [unrolled: 1-line block ×9, first 2 shown]
	v_sub_f16_e32 v30, v217, v89
	v_pk_add_f16 v1, v9, v1
	v_mul_f16_e32 v140, 0xb8d2, v140
	v_mul_f16_e32 v216, 0xbacd, v75
	;; [unrolled: 1-line block ×8, first 2 shown]
	v_alignbit_b32 v143, v143, v143, 16
	v_bfi_b32 v70, s9, v70, v134
	v_bfi_b32 v134, s9, v137, v167
	v_add_f16_e32 v97, v98, v97
	v_add_f16_e32 v98, v120, v215
	v_add_f16_e32 v72, v73, v72
	v_add_f16_e32 v73, v111, v213
	v_add_f16_e32 v60, v61, v60
	v_add_f16_e32 v61, v110, v222
	v_add_f16_e32 v29, v31, v29
	v_add_f16_e32 v31, v100, v220
	v_add_f16_e32 v27, v30, v27
	v_sub_f16_e32 v30, v228, v96
	v_pk_add_f16 v1, v12, v1
	v_mul_f16_e32 v194, 0xb461, v28
	v_mul_f16_e32 v136, 0xb461, v136
	;; [unrolled: 1-line block ×8, first 2 shown]
	v_pk_add_f16 v75, v75, v134 neg_lo:[0,1] neg_hi:[0,1]
	v_pk_add_f16 v134, v143, v167
	v_add_f16_e32 v106, v106, v140
	v_sub_f16_e32 v103, v182, v103
	v_add_f16_e32 v97, v98, v97
	v_add_f16_e32 v98, v131, v226
	;; [unrolled: 1-line block ×9, first 2 shown]
	v_sub_f16_e32 v30, v239, v105
	v_pk_add_f16 v1, v13, v1
	v_mul_f16_e32 v149, 0x3b76, v149
	v_mul_f16_e32 v227, 0x2de8, v83
	;; [unrolled: 1-line block ×7, first 2 shown]
	v_pk_add_f16 v28, v28, v121 neg_lo:[0,1] neg_hi:[0,1]
	v_alignbit_b32 v150, v150, v150, 16
	v_bfi_b32 v75, s9, v75, v134
	v_bfi_b32 v134, s9, v145, v168
	v_add_f16_sdwa v106, v106, v0 dst_sel:DWORD dst_unused:UNUSED_PAD src0_sel:DWORD src1_sel:WORD_1
	v_add_f16_e32 v107, v107, v136
	v_add_f16_e32 v103, v103, v0
	v_sub_f16_e32 v104, v194, v104
	v_add_f16_e32 v97, v98, v97
	v_add_f16_e32 v98, v141, v237
	;; [unrolled: 1-line block ×9, first 2 shown]
	v_sub_f16_e32 v30, v250, v114
	v_pk_add_f16 v1, v22, v1
	v_mul_f16_e32 v153, 0xbacd, v153
	v_mul_f16_e32 v121, 0x39e9, v162
	v_bfi_b32 v28, s9, v28, v124
	v_mul_f16_e32 v124, 0xb8d2, v162
	v_pk_add_f16 v83, v83, v134 neg_lo:[0,1] neg_hi:[0,1]
	v_pk_add_f16 v134, v150, v168
	v_add_f16_e32 v106, v107, v106
	v_add_f16_e32 v107, v122, v149
	;; [unrolled: 1-line block ×3, first 2 shown]
	v_sub_f16_e32 v104, v205, v115
	v_add_f16_e32 v97, v98, v97
	v_add_f16_e32 v98, v147, v248
	;; [unrolled: 1-line block ×9, first 2 shown]
	v_pk_add_f16 v1, v23, v1
	v_pk_add_f16 v0, v26, v0
	v_mul_f16_e32 v157, 0x2de8, v157
	v_mul_f16_e32 v238, 0x39e9, v85
	;; [unrolled: 1-line block ×3, first 2 shown]
	v_alignbit_b32 v156, v156, v156, 16
	v_bfi_b32 v83, s9, v83, v134
	v_bfi_b32 v134, s9, v152, v169
	v_add_f16_e32 v106, v107, v106
	v_add_f16_e32 v107, v132, v153
	;; [unrolled: 1-line block ×3, first 2 shown]
	v_sub_f16_e32 v104, v216, v126
	v_add_f16_e32 v97, v98, v97
	v_add_f16_e32 v98, v154, v124
	v_add_f16_e32 v72, v73, v72
	v_add_f16_e32 v73, v146, v121
	v_add_f16_e32 v60, v61, v60
	v_add_f16_e32 v29, v31, v29
	v_lshlrev_b32_e32 v6, 2, v38
	v_pk_add_f16 v1, v14, v1
	v_pack_b32_f16 v2, v27, v25
	v_pk_add_f16 v0, v28, v0
	v_mul_f16_e32 v160, 0x39e9, v160
	v_pk_add_f16 v85, v85, v134 neg_lo:[0,1] neg_hi:[0,1]
	v_pk_add_f16 v134, v156, v169
	v_add_f16_e32 v106, v107, v106
	v_add_f16_e32 v107, v142, v157
	;; [unrolled: 1-line block ×3, first 2 shown]
	v_sub_f16_e32 v104, v227, v135
	v_add_f16_e32 v97, v98, v97
	v_add_f16_e32 v72, v73, v72
	ds_write2_b32 v6, v1, v2 offset1:1
	v_pack_b32_f16 v1, v24, v60
	v_pack_b32_f16 v2, v20, v29
	v_pk_add_f16 v0, v70, v0
	v_mul_f16_e32 v249, 0xbbdd, v90
	v_mul_f16_e32 v163, 0xbbdd, v163
	;; [unrolled: 1-line block ×3, first 2 shown]
	v_alignbit_b32 v161, v161, v161, 16
	v_bfi_b32 v85, s9, v85, v134
	v_bfi_b32 v134, s9, v158, v171
	v_add_f16_e32 v106, v107, v106
	v_add_f16_e32 v107, v148, v160
	;; [unrolled: 1-line block ×3, first 2 shown]
	v_sub_f16_e32 v104, v238, v144
	ds_write2_b32 v6, v2, v1 offset0:2 offset1:3
	v_pack_b32_f16 v1, v71, v97
	v_pack_b32_f16 v2, v59, v72
	v_pk_add_f16 v0, v75, v0
	v_mul_f16_e32 v133, 0x3722, v87
	v_mul_f16_e32 v162, 0x3722, v162
	;; [unrolled: 1-line block ×3, first 2 shown]
	v_alignbit_b32 v164, v164, v164, 16
	v_pk_add_f16 v90, v90, v134 neg_lo:[0,1] neg_hi:[0,1]
	v_pk_add_f16 v134, v161, v171
	v_add_f16_e32 v106, v107, v106
	v_add_f16_e32 v107, v155, v163
	;; [unrolled: 1-line block ×3, first 2 shown]
	v_sub_f16_e32 v104, v249, v151
	ds_write2_b32 v6, v2, v1 offset0:4 offset1:5
	v_pk_add_f16 v0, v83, v0
	v_bfi_b32 v1, s9, v112, v127
	v_bfi_b32 v90, s9, v90, v134
	v_add_f16_e32 v106, v107, v106
	v_add_f16_e32 v107, v159, v162
	;; [unrolled: 1-line block ×3, first 2 shown]
	v_sub_f16_e32 v104, v133, v165
	v_pk_add_f16 v0, v85, v0
	v_pk_add_f16 v1, v87, v1 neg_lo:[0,1] neg_hi:[0,1]
	v_pk_add_f16 v2, v164, v127
	v_add_f16_e32 v106, v107, v106
	v_add_f16_e32 v103, v104, v103
	v_pk_add_f16 v0, v90, v0
	v_bfi_b32 v1, s9, v1, v2
	v_pk_add_f16 v0, v1, v0
	v_pack_b32_f16 v1, v103, v106
	ds_write2_b32 v6, v1, v0 offset0:6 offset1:7
	v_perm_b32 v0, v35, v34, s8
	v_alignbit_b32 v1, v47, v35, 16
	ds_write2_b32 v6, v0, v1 offset0:8 offset1:9
	v_perm_b32 v0, v43, v21, s8
	v_bfi_b32 v1, s9, v33, v34
	ds_write2_b32 v6, v1, v0 offset0:10 offset1:11
	v_perm_b32 v0, v44, v19, s8
	v_perm_b32 v1, v45, v18, s8
	ds_write2_b32 v6, v1, v0 offset0:12 offset1:13
	v_perm_b32 v0, v40, v17, s8
	v_perm_b32 v1, v41, v16, s8
	ds_write2_b32 v6, v1, v0 offset0:14 offset1:15
	v_perm_b32 v0, v39, v42, s8
	ds_write_b32 v6, v0 offset:64
.LBB0_7:
	s_or_b64 exec, exec, s[4:5]
	s_load_dwordx4 s[8:11], s[0:1], 0x0
	s_movk_i32 s0, 0xf1
	v_mul_lo_u16_sdwa v0, v36, s0 dst_sel:DWORD dst_unused:UNUSED_PAD src0_sel:BYTE_0 src1_sel:DWORD
	v_lshrrev_b16_e32 v22, 12, v0
	v_mul_lo_u16_e32 v0, 17, v22
	v_sub_u16_e32 v0, v36, v0
	v_and_b32_e32 v23, 0xff, v0
	v_mad_u64_u32 v[4:5], s[0:1], v23, 28, s[2:3]
	s_waitcnt lgkmcnt(0)
	s_barrier
	global_load_dwordx4 v[0:3], v[4:5], off
	global_load_dwordx3 v[12:14], v[4:5], off offset:16
	v_add_u32_e32 v6, 0x500, v37
	v_add_u32_e32 v8, 0xb00, v37
	;; [unrolled: 1-line block ×3, first 2 shown]
	ds_read2_b32 v[4:5], v37 offset1:187
	ds_read2_b32 v[6:7], v6 offset0:54 offset1:241
	ds_read2_b32 v[8:9], v8 offset0:44 offset1:231
	;; [unrolled: 1-line block ×3, first 2 shown]
	s_mov_b32 s0, 0xb9a8
	s_movk_i32 s1, 0x39a8
	s_waitcnt lgkmcnt(2)
	v_lshrrev_b32_e32 v25, 16, v6
	v_lshrrev_b32_e32 v24, 16, v5
	;; [unrolled: 1-line block ×3, first 2 shown]
	s_waitcnt lgkmcnt(1)
	v_lshrrev_b32_e32 v27, 16, v8
	v_lshrrev_b32_e32 v28, 16, v9
	s_waitcnt lgkmcnt(0)
	v_lshrrev_b32_e32 v29, 16, v10
	v_lshrrev_b32_e32 v30, 16, v11
	;; [unrolled: 1-line block ×3, first 2 shown]
	s_waitcnt vmcnt(0)
	s_barrier
	v_mul_f16_sdwa v31, v24, v0 dst_sel:DWORD dst_unused:UNUSED_PAD src0_sel:DWORD src1_sel:WORD_1
	v_mul_f16_sdwa v46, v25, v1 dst_sel:DWORD dst_unused:UNUSED_PAD src0_sel:DWORD src1_sel:WORD_1
	;; [unrolled: 1-line block ×14, first 2 shown]
	v_fma_f16 v5, v5, v0, -v31
	v_fma_f16 v6, v6, v1, -v46
	v_fma_f16 v7, v7, v2, -v49
	v_fma_f16 v8, v8, v3, -v51
	v_fma_f16 v9, v9, v12, -v53
	v_fma_f16 v10, v10, v13, -v55
	v_fma_f16 v11, v11, v14, -v57
	v_fma_f16 v24, v24, v0, v32
	v_fma_f16 v25, v25, v1, v48
	;; [unrolled: 1-line block ×7, first 2 shown]
	v_sub_f16_e32 v8, v4, v8
	v_sub_f16_e32 v10, v6, v10
	;; [unrolled: 1-line block ×8, first 2 shown]
	v_fma_f16 v4, v4, 2.0, -v8
	v_fma_f16 v6, v6, 2.0, -v10
	;; [unrolled: 1-line block ×8, first 2 shown]
	v_sub_f16_e32 v46, v8, v29
	v_add_f16_e32 v10, v27, v10
	v_sub_f16_e32 v30, v9, v30
	v_add_f16_e32 v11, v28, v11
	v_sub_f16_e32 v6, v4, v6
	v_sub_f16_e32 v7, v5, v7
	;; [unrolled: 1-line block ×3, first 2 shown]
	v_fma_f16 v8, v8, 2.0, -v46
	v_fma_f16 v29, v27, 2.0, -v10
	v_sub_f16_e32 v31, v24, v26
	v_fma_f16 v9, v9, 2.0, -v30
	v_fma_f16 v25, v28, 2.0, -v11
	;; [unrolled: 1-line block ×6, first 2 shown]
	v_fma_f16 v26, v9, s0, v8
	v_fma_f16 v49, v25, s0, v29
	v_sub_f16_e32 v27, v4, v5
	v_sub_f16_e32 v48, v20, v24
	v_fma_f16 v28, v25, s0, v26
	v_fma_f16 v25, v4, 2.0, -v27
	v_fma_f16 v52, v9, s1, v49
	v_add_f16_e32 v53, v32, v7
	v_fma_f16 v4, v30, s1, v46
	v_fma_f16 v5, v11, s1, v10
	v_fma_f16 v20, v20, 2.0, -v48
	v_fma_f16 v26, v8, 2.0, -v28
	;; [unrolled: 1-line block ×3, first 2 shown]
	v_sub_f16_e32 v31, v6, v31
	v_fma_f16 v50, v32, 2.0, -v53
	v_fma_f16 v32, v11, s0, v4
	v_fma_f16 v54, v30, s1, v5
	v_mul_u32_u24_e32 v4, 0x88, v22
	v_fma_f16 v29, v6, 2.0, -v31
	v_fma_f16 v30, v46, 2.0, -v32
	;; [unrolled: 1-line block ×3, first 2 shown]
	v_add_lshl_u32 v46, v4, v23, 2
	v_pack_b32_f16 v4, v25, v20
	v_pack_b32_f16 v5, v26, v49
	ds_write2_b32 v46, v4, v5 offset1:17
	v_pack_b32_f16 v4, v29, v50
	v_pack_b32_f16 v5, v30, v51
	s_movk_i32 s0, 0x88
	ds_write2_b32 v46, v4, v5 offset0:34 offset1:51
	v_pack_b32_f16 v4, v27, v48
	v_pack_b32_f16 v5, v28, v52
	ds_write2_b32 v46, v4, v5 offset0:68 offset1:85
	v_pack_b32_f16 v4, v31, v53
	v_pack_b32_f16 v5, v32, v54
	v_cmp_gt_u16_e64 s[0:1], s0, v36
	v_lshrrev_b32_e32 v24, 16, v35
	ds_write2_b32 v46, v4, v5 offset0:102 offset1:119
	s_waitcnt lgkmcnt(0)
	s_barrier
	s_and_saveexec_b64 s[4:5], s[0:1]
	s_cbranch_execz .LBB0_9
; %bb.8:
	v_add_u32_e32 v4, 0x400, v37
	ds_read2_b32 v[29:30], v4 offset0:16 offset1:152
	v_add_u32_e32 v4, 0x800, v37
	ds_read2_b32 v[27:28], v4 offset0:32 offset1:168
	v_add_u32_e32 v4, 0xc00, v37
	ds_read2_b32 v[31:32], v4 offset0:48 offset1:184
	v_add_u32_e32 v4, 0x1000, v37
	ds_read2_b32 v[25:26], v37 offset1:136
	ds_read2_b32 v[23:24], v4 offset0:64 offset1:200
	ds_read_b32 v33, v37 offset:5440
	s_mov_b32 s14, 0xffff
	s_waitcnt lgkmcnt(5)
	v_lshrrev_b32_e32 v50, 16, v29
	s_waitcnt lgkmcnt(2)
	v_lshrrev_b32_e32 v20, 16, v25
	v_lshrrev_b32_e32 v49, 16, v26
	;; [unrolled: 1-line block ×7, first 2 shown]
	s_waitcnt lgkmcnt(1)
	v_lshrrev_b32_e32 v35, 16, v23
	v_lshrrev_b32_e32 v47, 16, v24
	s_waitcnt lgkmcnt(0)
	v_bfi_b32 v34, s14, v23, v33
.LBB0_9:
	s_or_b64 exec, exec, s[4:5]
	v_add_u32_e32 v4, 0xffffff78, v36
	v_cndmask_b32_e64 v4, v4, v36, s[0:1]
	v_mul_hi_i32_i24_e32 v5, 40, v4
	v_mul_i32_i24_e32 v4, 40, v4
	v_mov_b32_e32 v6, s3
	v_add_co_u32_e64 v55, s[2:3], s2, v4
	v_addc_co_u32_e64 v56, s[2:3], v6, v5, s[2:3]
	global_load_dwordx4 v[4:7], v[55:56], off offset:476
	global_load_dwordx4 v[8:11], v[55:56], off offset:492
	global_load_dwordx2 v[22:23], v[55:56], off offset:508
	v_lshrrev_b32_e32 v55, 16, v34
	s_movk_i32 s2, 0x36a6
	s_movk_i32 s3, 0x3abb
	s_mov_b32 s4, 0xb08e
	s_mov_b32 s5, 0xb93d
	;; [unrolled: 1-line block ×3, first 2 shown]
	s_waitcnt vmcnt(2)
	v_mul_f16_sdwa v56, v49, v4 dst_sel:DWORD dst_unused:UNUSED_PAD src0_sel:DWORD src1_sel:WORD_1
	v_mul_f16_sdwa v57, v26, v4 dst_sel:DWORD dst_unused:UNUSED_PAD src0_sel:DWORD src1_sel:WORD_1
	v_mul_f16_sdwa v58, v50, v5 dst_sel:DWORD dst_unused:UNUSED_PAD src0_sel:DWORD src1_sel:WORD_1
	v_mul_f16_sdwa v59, v29, v5 dst_sel:DWORD dst_unused:UNUSED_PAD src0_sel:DWORD src1_sel:WORD_1
	s_waitcnt vmcnt(0)
	v_mul_f16_sdwa v72, v47, v22 dst_sel:DWORD dst_unused:UNUSED_PAD src0_sel:DWORD src1_sel:WORD_1
	v_mul_f16_sdwa v73, v24, v22 dst_sel:DWORD dst_unused:UNUSED_PAD src0_sel:DWORD src1_sel:WORD_1
	;; [unrolled: 1-line block ×4, first 2 shown]
	v_fma_f16 v26, v26, v4, -v56
	v_fma_f16 v49, v49, v4, v57
	v_mul_f16_sdwa v60, v51, v6 dst_sel:DWORD dst_unused:UNUSED_PAD src0_sel:DWORD src1_sel:WORD_1
	v_mul_f16_sdwa v61, v30, v6 dst_sel:DWORD dst_unused:UNUSED_PAD src0_sel:DWORD src1_sel:WORD_1
	v_fma_f16 v29, v29, v5, -v58
	v_fma_f16 v50, v50, v5, v59
	v_fma_f16 v56, v24, v22, -v72
	v_fma_f16 v57, v47, v22, v73
	v_fma_f16 v24, v33, v23, -v74
	v_fma_f16 v33, v55, v23, v75
	v_add_f16_e32 v47, v25, v26
	v_add_f16_e32 v55, v20, v49
	v_mul_f16_sdwa v62, v48, v7 dst_sel:DWORD dst_unused:UNUSED_PAD src0_sel:DWORD src1_sel:WORD_1
	v_mul_f16_sdwa v63, v27, v7 dst_sel:DWORD dst_unused:UNUSED_PAD src0_sel:DWORD src1_sel:WORD_1
	v_fma_f16 v30, v30, v6, -v60
	v_fma_f16 v51, v51, v6, v61
	v_add_f16_e32 v47, v47, v29
	v_add_f16_e32 v55, v55, v50
	v_mul_f16_sdwa v64, v52, v8 dst_sel:DWORD dst_unused:UNUSED_PAD src0_sel:DWORD src1_sel:WORD_1
	v_mul_f16_sdwa v65, v28, v8 dst_sel:DWORD dst_unused:UNUSED_PAD src0_sel:DWORD src1_sel:WORD_1
	v_fma_f16 v27, v27, v7, -v62
	v_fma_f16 v48, v48, v7, v63
	;; [unrolled: 6-line block ×5, first 2 shown]
	v_add_f16_e32 v47, v47, v31
	v_add_f16_e32 v55, v55, v53
	v_fma_f16 v34, v34, v11, -v70
	v_fma_f16 v35, v35, v11, v71
	v_add_f16_e32 v59, v49, v33
	v_sub_f16_e32 v49, v49, v33
	v_add_f16_e32 v47, v47, v32
	v_add_f16_e32 v55, v55, v54
	v_add_f16_e32 v58, v26, v24
	v_mul_f16_e32 v62, 0xbb47, v49
	v_add_f16_e32 v47, v47, v34
	v_add_f16_e32 v55, v55, v35
	v_sub_f16_e32 v26, v26, v24
	v_fma_f16 v66, v58, s2, -v62
	v_fma_f16 v62, v58, s2, v62
	v_add_f16_e32 v47, v47, v56
	v_add_f16_e32 v55, v55, v57
	v_mul_f16_e32 v60, 0xb853, v49
	v_mul_f16_e32 v63, 0xbb47, v26
	v_add_f16_e32 v24, v47, v24
	v_add_f16_e32 v47, v55, v33
	;; [unrolled: 1-line block ×3, first 2 shown]
	v_mul_f16_e32 v62, 0xbbeb, v49
	v_mul_f16_e32 v70, 0xba0c, v49
	;; [unrolled: 1-line block ×4, first 2 shown]
	v_fma_f16 v64, v58, s3, -v60
	v_fma_f16 v60, v58, s3, v60
	v_fma_f16 v67, v59, s2, v63
	v_fma_f16 v55, v59, s2, -v63
	v_fma_f16 v63, v58, s4, -v62
	v_mul_f16_e32 v68, 0xbbeb, v26
	v_fma_f16 v62, v58, s4, v62
	v_fma_f16 v71, v58, s5, -v70
	v_mul_f16_e32 v72, 0xba0c, v26
	v_fma_f16 v70, v58, s5, v70
	;; [unrolled: 3-line block ×3, first 2 shown]
	v_fma_f16 v65, v59, s3, v61
	v_fma_f16 v61, v59, s3, -v61
	v_add_f16_e32 v64, v25, v64
	v_add_f16_e32 v60, v25, v60
	;; [unrolled: 1-line block ×4, first 2 shown]
	v_fma_f16 v69, v59, s4, v68
	v_add_f16_e32 v62, v25, v62
	v_fma_f16 v68, v59, s4, -v68
	v_add_f16_e32 v71, v25, v71
	v_fma_f16 v73, v59, s5, v72
	v_add_f16_e32 v70, v25, v70
	v_fma_f16 v72, v59, s5, -v72
	v_add_f16_e32 v74, v25, v74
	;; [unrolled: 4-line block ×3, first 2 shown]
	v_sub_f16_e32 v50, v50, v57
	v_add_f16_e32 v65, v20, v65
	v_add_f16_e32 v61, v20, v61
	;; [unrolled: 1-line block ×11, first 2 shown]
	v_sub_f16_e32 v29, v29, v56
	v_mul_f16_e32 v56, 0xbb47, v50
	v_fma_f16 v57, v26, s2, -v56
	v_mul_f16_e32 v58, 0xbb47, v29
	v_fma_f16 v56, v26, s2, v56
	v_fma_f16 v59, v49, s2, v58
	v_add_f16_e32 v56, v56, v60
	v_fma_f16 v58, v49, s2, -v58
	v_mul_f16_e32 v60, 0xba0c, v50
	v_add_f16_e32 v57, v57, v64
	v_add_f16_e32 v58, v58, v61
	v_fma_f16 v61, v26, s5, -v60
	v_mul_f16_e32 v64, 0xba0c, v29
	v_fma_f16 v60, v26, s5, v60
	v_add_f16_e32 v33, v60, v33
	v_fma_f16 v60, v49, s5, -v64
	v_add_f16_e32 v55, v60, v55
	v_mul_f16_e32 v60, 0x3482, v50
	v_add_f16_e32 v59, v59, v65
	v_fma_f16 v65, v49, s5, v64
	v_fma_f16 v64, v26, s14, -v60
	v_add_f16_e32 v63, v64, v63
	v_mul_f16_e32 v64, 0x3482, v29
	v_fma_f16 v60, v26, s14, v60
	v_add_f16_e32 v61, v61, v66
	v_fma_f16 v66, v49, s14, v64
	v_add_f16_e32 v60, v60, v62
	v_fma_f16 v62, v49, s14, -v64
	v_mul_f16_e32 v64, 0x3beb, v50
	v_add_f16_e32 v65, v65, v67
	v_fma_f16 v67, v26, s4, -v64
	v_fma_f16 v64, v26, s4, v64
	v_mul_f16_e32 v50, 0x3853, v50
	v_add_f16_e32 v62, v62, v68
	v_mul_f16_e32 v68, 0x3beb, v29
	v_add_f16_e32 v64, v64, v70
	v_fma_f16 v70, v26, s3, -v50
	v_mul_f16_e32 v29, 0x3853, v29
	v_fma_f16 v26, v26, s3, v50
	v_add_f16_e32 v25, v26, v25
	v_fma_f16 v26, v49, s3, -v29
	v_add_f16_e32 v20, v26, v20
	v_add_f16_e32 v26, v30, v34
	v_sub_f16_e32 v30, v30, v34
	v_sub_f16_e32 v34, v51, v35
	v_add_f16_e32 v67, v67, v71
	v_fma_f16 v71, v49, s3, v29
	v_add_f16_e32 v29, v51, v35
	v_mul_f16_e32 v35, 0xbbeb, v34
	v_add_f16_e32 v66, v66, v69
	v_fma_f16 v69, v49, s4, v68
	v_fma_f16 v68, v49, s4, -v68
	v_fma_f16 v49, v26, s4, -v35
	v_mul_f16_e32 v50, 0xbbeb, v30
	v_fma_f16 v35, v26, s4, v35
	v_fma_f16 v51, v29, s4, v50
	v_add_f16_e32 v35, v35, v56
	v_fma_f16 v50, v29, s4, -v50
	v_mul_f16_e32 v56, 0x3482, v34
	v_add_f16_e32 v49, v49, v57
	v_add_f16_e32 v50, v50, v58
	v_fma_f16 v57, v26, s14, -v56
	v_mul_f16_e32 v58, 0x3482, v30
	v_fma_f16 v56, v26, s14, v56
	v_add_f16_e32 v33, v56, v33
	v_fma_f16 v56, v29, s14, -v58
	v_add_f16_e32 v55, v56, v55
	v_mul_f16_e32 v56, 0x3b47, v34
	v_add_f16_e32 v51, v51, v59
	v_add_f16_e32 v57, v57, v61
	v_fma_f16 v59, v29, s14, v58
	v_fma_f16 v58, v26, s2, -v56
	v_mul_f16_e32 v61, 0x3b47, v30
	v_fma_f16 v56, v26, s2, v56
	v_add_f16_e32 v58, v58, v63
	v_fma_f16 v63, v29, s2, v61
	v_add_f16_e32 v56, v56, v60
	v_fma_f16 v60, v29, s2, -v61
	v_mul_f16_e32 v61, 0xb853, v34
	v_add_f16_e32 v59, v59, v65
	v_add_f16_e32 v60, v60, v62
	v_fma_f16 v62, v26, s3, -v61
	v_mul_f16_e32 v65, 0xb853, v30
	v_fma_f16 v61, v26, s3, v61
	v_mul_f16_e32 v34, 0xba0c, v34
	v_add_f16_e32 v63, v63, v66
	v_fma_f16 v66, v29, s3, v65
	v_add_f16_e32 v61, v61, v64
	v_fma_f16 v64, v29, s3, -v65
	v_fma_f16 v65, v26, s5, -v34
	v_mul_f16_e32 v30, 0xba0c, v30
	v_fma_f16 v26, v26, s5, v34
	v_add_f16_e32 v62, v62, v67
	v_fma_f16 v67, v29, s5, v30
	v_add_f16_e32 v25, v26, v25
	v_fma_f16 v26, v29, s5, -v30
	v_sub_f16_e32 v30, v48, v54
	v_add_f16_e32 v20, v26, v20
	v_add_f16_e32 v26, v27, v32
	v_sub_f16_e32 v27, v27, v32
	v_mul_f16_e32 v32, 0xba0c, v30
	v_add_f16_e32 v29, v48, v54
	v_fma_f16 v34, v26, s5, -v32
	v_mul_f16_e32 v48, 0xba0c, v27
	v_fma_f16 v32, v26, s5, v32
	v_add_f16_e32 v34, v34, v49
	v_fma_f16 v49, v29, s5, v48
	v_add_f16_e32 v32, v32, v35
	v_fma_f16 v35, v29, s5, -v48
	v_mul_f16_e32 v48, 0x3beb, v30
	v_add_f16_e32 v49, v49, v51
	v_add_f16_e32 v35, v35, v50
	v_fma_f16 v50, v26, s4, -v48
	v_mul_f16_e32 v51, 0x3beb, v27
	v_fma_f16 v48, v26, s4, v48
	v_add_f16_e32 v33, v48, v33
	v_fma_f16 v48, v29, s4, -v51
	v_add_f16_e32 v55, v48, v55
	v_mul_f16_e32 v48, 0xb853, v30
	v_fma_f16 v54, v29, s4, v51
	v_fma_f16 v51, v26, s3, -v48
	v_add_f16_e32 v50, v50, v57
	v_add_f16_e32 v57, v51, v58
	v_mul_f16_e32 v51, 0xb853, v27
	v_fma_f16 v48, v26, s3, v48
	v_add_f16_e32 v56, v48, v56
	v_fma_f16 v48, v29, s3, -v51
	v_add_f16_e32 v54, v54, v59
	v_add_f16_e32 v59, v48, v60
	v_mul_f16_e32 v48, 0xb482, v30
	v_fma_f16 v58, v29, s3, v51
	v_fma_f16 v51, v26, s14, -v48
	v_add_f16_e32 v68, v68, v72
	v_add_f16_e32 v60, v51, v62
	v_mul_f16_e32 v51, 0xb482, v27
	v_fma_f16 v48, v26, s14, v48
	v_add_f16_e32 v69, v69, v73
	v_add_f16_e32 v70, v70, v74
	;; [unrolled: 1-line block ×4, first 2 shown]
	v_fma_f16 v48, v29, s14, -v51
	v_mul_f16_e32 v30, 0x3b47, v30
	v_add_f16_e32 v66, v66, v69
	v_add_f16_e32 v65, v65, v70
	v_add_f16_e32 v58, v58, v63
	v_fma_f16 v62, v29, s14, v51
	v_add_f16_e32 v63, v48, v64
	v_fma_f16 v48, v26, s2, -v30
	v_fma_f16 v26, v26, s2, v30
	v_sub_f16_e32 v70, v28, v31
	v_add_f16_e32 v71, v71, v75
	v_add_f16_e32 v62, v62, v66
	v_mul_f16_e32 v27, 0x3b47, v27
	v_add_f16_e32 v66, v26, v25
	v_add_f16_e32 v69, v52, v53
	v_mul_f16_e32 v26, 0xb482, v70
	v_add_f16_e32 v67, v67, v71
	v_add_f16_e32 v64, v48, v65
	v_fma_f16 v48, v29, s2, v27
	v_fma_f16 v25, v29, s2, -v27
	v_sub_f16_e32 v29, v52, v53
	v_fma_f16 v27, v69, s14, v26
	v_add_f16_e32 v65, v48, v67
	v_add_f16_e32 v67, v25, v20
	;; [unrolled: 1-line block ×3, first 2 shown]
	v_mul_f16_e32 v20, 0xb482, v29
	v_add_f16_e32 v48, v27, v49
	v_fma_f16 v26, v69, s14, -v26
	v_mul_f16_e32 v27, 0x3853, v29
	v_fma_f16 v25, v68, s14, -v20
	v_fma_f16 v20, v68, s14, v20
	v_add_f16_e32 v51, v26, v35
	v_fma_f16 v26, v68, s3, -v27
	v_mul_f16_e32 v28, 0x3853, v70
	v_fma_f16 v27, v68, s3, v27
	v_add_f16_e32 v20, v20, v32
	v_fma_f16 v30, v69, s3, v28
	v_add_f16_e32 v31, v27, v33
	v_fma_f16 v27, v69, s3, -v28
	v_mul_f16_e32 v28, 0xba0c, v29
	v_mul_f16_e32 v32, 0xba0c, v70
	v_add_f16_e32 v49, v30, v54
	v_add_f16_e32 v53, v27, v55
	v_fma_f16 v27, v68, s5, -v28
	v_fma_f16 v30, v69, s5, v32
	v_fma_f16 v28, v68, s5, v28
	v_add_f16_e32 v25, v25, v34
	v_add_f16_e32 v26, v26, v50
	v_add_f16_e32 v50, v30, v58
	v_add_f16_e32 v30, v28, v56
	v_fma_f16 v28, v69, s5, -v32
	v_mul_f16_e32 v32, 0x3b47, v29
	v_mul_f16_e32 v34, 0x3b47, v70
	v_add_f16_e32 v55, v28, v59
	v_fma_f16 v28, v68, s2, -v32
	v_fma_f16 v33, v69, s2, v34
	v_fma_f16 v32, v68, s2, v32
	v_add_f16_e32 v52, v33, v62
	v_add_f16_e32 v33, v32, v61
	v_fma_f16 v32, v69, s2, -v34
	v_add_f16_e32 v56, v32, v63
	v_mul_f16_e32 v32, 0xbbeb, v29
	v_mul_f16_e32 v34, 0xbbeb, v70
	v_fma_f16 v29, v68, s4, -v32
	v_fma_f16 v35, v69, s4, v34
	v_fma_f16 v32, v68, s4, v32
	v_fma_f16 v34, v69, s4, -v34
	v_add_f16_e32 v27, v27, v57
	v_add_f16_e32 v28, v28, v60
	v_add_f16_e32 v29, v29, v64
	v_add_f16_e32 v54, v35, v65
	v_add_f16_e32 v32, v32, v66
	v_add_f16_e32 v57, v34, v67
	s_and_saveexec_b64 s[2:3], s[0:1]
	s_cbranch_execz .LBB0_11
; %bb.10:
	s_mov_b32 s4, 0x5040100
	v_perm_b32 v34, v47, v24, s4
	v_perm_b32 v35, v48, v25, s4
	ds_write2_b32 v37, v34, v35 offset1:136
	v_perm_b32 v34, v49, v26, s4
	v_perm_b32 v35, v50, v27, s4
	v_add_u32_e32 v58, 0x400, v37
	ds_write2_b32 v58, v34, v35 offset0:16 offset1:152
	v_perm_b32 v34, v52, v28, s4
	v_perm_b32 v35, v54, v29, s4
	v_add_u32_e32 v58, 0x800, v37
	ds_write2_b32 v58, v34, v35 offset0:32 offset1:168
	;; [unrolled: 4-line block ×4, first 2 shown]
	v_perm_b32 v34, v51, v20, s4
	ds_write_b32 v37, v34 offset:5440
.LBB0_11:
	s_or_b64 exec, exec, s[2:3]
	s_waitcnt lgkmcnt(0)
	s_barrier
	s_and_saveexec_b64 s[4:5], vcc
	s_cbranch_execz .LBB0_13
; %bb.12:
	s_add_u32 s14, s6, 0x1760
	s_addc_u32 s15, s7, 0
	global_load_dword v58, v37, s[14:15]
	global_load_dword v66, v37, s[14:15] offset:352
	global_load_dword v67, v37, s[14:15] offset:704
	;; [unrolled: 1-line block ×8, first 2 shown]
	ds_read_b32 v59, v37
	global_load_dword v78, v37, s[14:15] offset:3168
	global_load_dword v79, v37, s[14:15] offset:3520
	;; [unrolled: 1-line block ×3, first 2 shown]
	v_mov_b32_e32 v34, s15
	v_add_co_u32_e64 v35, s[2:3], s14, v37
	s_movk_i32 s16, 0x1000
	v_addc_co_u32_e64 v61, s[2:3], 0, v34, s[2:3]
	v_add_co_u32_e64 v34, s[2:3], s16, v35
	v_addc_co_u32_e64 v35, s[2:3], 0, v61, s[2:3]
	v_or_b32_e32 v60, 0x1600, v37
	global_load_dword v81, v[34:35], off offset:128
	global_load_dword v82, v[34:35], off offset:480
	;; [unrolled: 1-line block ×4, first 2 shown]
	global_load_dword v85, v60, s[14:15]
	s_waitcnt lgkmcnt(0)
	v_lshrrev_b32_e32 v61, 16, v59
	v_add_u32_e32 v74, 0x400, v37
	v_add_u32_e32 v75, 0x600, v37
	;; [unrolled: 1-line block ×4, first 2 shown]
	s_waitcnt vmcnt(16)
	v_mul_f16_sdwa v34, v61, v58 dst_sel:DWORD dst_unused:UNUSED_PAD src0_sel:DWORD src1_sel:WORD_1
	v_mul_f16_sdwa v35, v59, v58 dst_sel:DWORD dst_unused:UNUSED_PAD src0_sel:DWORD src1_sel:WORD_1
	v_fma_f16 v34, v59, v58, -v34
	v_fma_f16 v35, v61, v58, v35
	v_pack_b32_f16 v34, v34, v35
	ds_write_b32 v37, v34
	ds_read2_b32 v[34:35], v37 offset0:88 offset1:176
	ds_read2_b32 v[58:59], v74 offset0:8 offset1:96
	ds_read2_b32 v[60:61], v75 offset0:56 offset1:144
	ds_read2_b32 v[62:63], v76 offset0:104 offset1:192
	ds_read2_b32 v[64:65], v77 offset0:24 offset1:112
	s_waitcnt lgkmcnt(4)
	v_lshrrev_b32_e32 v86, 16, v34
	s_waitcnt vmcnt(15)
	v_mul_f16_sdwa v87, v34, v66 dst_sel:DWORD dst_unused:UNUSED_PAD src0_sel:DWORD src1_sel:WORD_1
	v_lshrrev_b32_e32 v88, 16, v35
	s_waitcnt vmcnt(14)
	v_mul_f16_sdwa v89, v35, v67 dst_sel:DWORD dst_unused:UNUSED_PAD src0_sel:DWORD src1_sel:WORD_1
	s_waitcnt lgkmcnt(3)
	v_lshrrev_b32_e32 v90, 16, v58
	s_waitcnt vmcnt(13)
	v_mul_f16_sdwa v91, v58, v68 dst_sel:DWORD dst_unused:UNUSED_PAD src0_sel:DWORD src1_sel:WORD_1
	v_lshrrev_b32_e32 v92, 16, v59
	s_waitcnt vmcnt(12)
	v_mul_f16_sdwa v93, v59, v69 dst_sel:DWORD dst_unused:UNUSED_PAD src0_sel:DWORD src1_sel:WORD_1
	s_waitcnt lgkmcnt(2)
	v_lshrrev_b32_e32 v94, 16, v60
	s_waitcnt vmcnt(11)
	v_mul_f16_sdwa v95, v60, v70 dst_sel:DWORD dst_unused:UNUSED_PAD src0_sel:DWORD src1_sel:WORD_1
	v_lshrrev_b32_e32 v96, 16, v61
	v_mul_f16_sdwa v102, v86, v66 dst_sel:DWORD dst_unused:UNUSED_PAD src0_sel:DWORD src1_sel:WORD_1
	v_fma_f16 v86, v86, v66, v87
	v_mul_f16_sdwa v87, v88, v67 dst_sel:DWORD dst_unused:UNUSED_PAD src0_sel:DWORD src1_sel:WORD_1
	s_waitcnt vmcnt(10)
	v_mul_f16_sdwa v97, v61, v71 dst_sel:DWORD dst_unused:UNUSED_PAD src0_sel:DWORD src1_sel:WORD_1
	s_waitcnt lgkmcnt(1)
	v_lshrrev_b32_e32 v98, 16, v62
	s_waitcnt vmcnt(9)
	v_mul_f16_sdwa v99, v62, v72 dst_sel:DWORD dst_unused:UNUSED_PAD src0_sel:DWORD src1_sel:WORD_1
	v_lshrrev_b32_e32 v100, 16, v63
	v_fma_f16 v88, v88, v67, v89
	v_mul_f16_sdwa v89, v90, v68 dst_sel:DWORD dst_unused:UNUSED_PAD src0_sel:DWORD src1_sel:WORD_1
	v_fma_f16 v90, v90, v68, v91
	v_mul_f16_sdwa v91, v92, v69 dst_sel:DWORD dst_unused:UNUSED_PAD src0_sel:DWORD src1_sel:WORD_1
	;; [unrolled: 2-line block ×4, first 2 shown]
	v_fma_f16 v34, v34, v66, -v102
	v_fma_f16 v35, v35, v67, -v87
	s_waitcnt vmcnt(8)
	v_mul_f16_sdwa v101, v63, v73 dst_sel:DWORD dst_unused:UNUSED_PAD src0_sel:DWORD src1_sel:WORD_1
	v_fma_f16 v96, v96, v71, v97
	v_mul_f16_sdwa v97, v98, v72 dst_sel:DWORD dst_unused:UNUSED_PAD src0_sel:DWORD src1_sel:WORD_1
	v_fma_f16 v98, v98, v72, v99
	v_mul_f16_sdwa v99, v100, v73 dst_sel:DWORD dst_unused:UNUSED_PAD src0_sel:DWORD src1_sel:WORD_1
	v_fma_f16 v58, v58, v68, -v89
	v_fma_f16 v59, v59, v69, -v91
	;; [unrolled: 1-line block ×4, first 2 shown]
	v_pack_b32_f16 v34, v34, v86
	v_pack_b32_f16 v35, v35, v88
	v_fma_f16 v62, v62, v72, -v97
	v_fma_f16 v63, v63, v73, -v99
	v_pack_b32_f16 v58, v58, v90
	v_pack_b32_f16 v59, v59, v92
	;; [unrolled: 1-line block ×4, first 2 shown]
	ds_write2_b32 v37, v34, v35 offset0:88 offset1:176
	ds_write2_b32 v74, v58, v59 offset0:8 offset1:96
	;; [unrolled: 1-line block ×3, first 2 shown]
	v_fma_f16 v34, v100, v73, v101
	v_pack_b32_f16 v62, v62, v98
	v_pack_b32_f16 v34, v63, v34
	ds_write2_b32 v76, v62, v34 offset0:104 offset1:192
	s_waitcnt lgkmcnt(4)
	v_lshrrev_b32_e32 v34, 16, v64
	s_waitcnt vmcnt(7)
	v_mul_f16_sdwa v35, v34, v78 dst_sel:DWORD dst_unused:UNUSED_PAD src0_sel:DWORD src1_sel:WORD_1
	v_mul_f16_sdwa v58, v64, v78 dst_sel:DWORD dst_unused:UNUSED_PAD src0_sel:DWORD src1_sel:WORD_1
	v_fma_f16 v35, v64, v78, -v35
	v_fma_f16 v34, v34, v78, v58
	v_lshrrev_b32_e32 v59, 16, v65
	v_pack_b32_f16 v58, v35, v34
	s_waitcnt vmcnt(6)
	v_mul_f16_sdwa v34, v59, v79 dst_sel:DWORD dst_unused:UNUSED_PAD src0_sel:DWORD src1_sel:WORD_1
	v_add_u32_e32 v61, 0xe00, v37
	v_fma_f16 v60, v65, v79, -v34
	ds_read2_b32 v[34:35], v61 offset0:72 offset1:160
	v_mul_f16_sdwa v62, v65, v79 dst_sel:DWORD dst_unused:UNUSED_PAD src0_sel:DWORD src1_sel:WORD_1
	v_fma_f16 v59, v59, v79, v62
	v_pack_b32_f16 v59, v60, v59
	ds_write2_b32 v77, v58, v59 offset0:24 offset1:112
	s_waitcnt lgkmcnt(1)
	v_lshrrev_b32_e32 v58, 16, v34
	s_waitcnt vmcnt(5)
	v_mul_f16_sdwa v59, v58, v80 dst_sel:DWORD dst_unused:UNUSED_PAD src0_sel:DWORD src1_sel:WORD_1
	v_fma_f16 v59, v34, v80, -v59
	v_mul_f16_sdwa v34, v34, v80 dst_sel:DWORD dst_unused:UNUSED_PAD src0_sel:DWORD src1_sel:WORD_1
	v_lshrrev_b32_e32 v60, 16, v35
	v_fma_f16 v34, v58, v80, v34
	s_waitcnt vmcnt(4)
	v_mul_f16_sdwa v58, v60, v81 dst_sel:DWORD dst_unused:UNUSED_PAD src0_sel:DWORD src1_sel:WORD_1
	v_add_u32_e32 v63, 0x1000, v37
	v_pack_b32_f16 v34, v59, v34
	v_fma_f16 v62, v35, v81, -v58
	ds_read2_b32 v[58:59], v63 offset0:120 offset1:208
	v_mul_f16_sdwa v35, v35, v81 dst_sel:DWORD dst_unused:UNUSED_PAD src0_sel:DWORD src1_sel:WORD_1
	v_fma_f16 v35, v60, v81, v35
	v_pack_b32_f16 v35, v62, v35
	ds_write2_b32 v61, v34, v35 offset0:72 offset1:160
	s_waitcnt lgkmcnt(1)
	v_lshrrev_b32_e32 v34, 16, v58
	s_waitcnt vmcnt(3)
	v_mul_f16_sdwa v35, v34, v82 dst_sel:DWORD dst_unused:UNUSED_PAD src0_sel:DWORD src1_sel:WORD_1
	v_fma_f16 v35, v58, v82, -v35
	v_mul_f16_sdwa v58, v58, v82 dst_sel:DWORD dst_unused:UNUSED_PAD src0_sel:DWORD src1_sel:WORD_1
	v_fma_f16 v34, v34, v82, v58
	v_lshrrev_b32_e32 v60, 16, v59
	v_pack_b32_f16 v58, v35, v34
	s_waitcnt vmcnt(2)
	v_mul_f16_sdwa v34, v60, v83 dst_sel:DWORD dst_unused:UNUSED_PAD src0_sel:DWORD src1_sel:WORD_1
	v_add_u32_e32 v62, 0x1400, v37
	v_fma_f16 v61, v59, v83, -v34
	ds_read2_b32 v[34:35], v62 offset0:40 offset1:128
	v_mul_f16_sdwa v59, v59, v83 dst_sel:DWORD dst_unused:UNUSED_PAD src0_sel:DWORD src1_sel:WORD_1
	v_fma_f16 v59, v60, v83, v59
	v_pack_b32_f16 v59, v61, v59
	ds_write2_b32 v63, v58, v59 offset0:120 offset1:208
	s_waitcnt lgkmcnt(1)
	v_lshrrev_b32_e32 v58, 16, v34
	s_waitcnt vmcnt(1)
	v_mul_f16_sdwa v59, v58, v84 dst_sel:DWORD dst_unused:UNUSED_PAD src0_sel:DWORD src1_sel:WORD_1
	v_fma_f16 v59, v34, v84, -v59
	v_mul_f16_sdwa v34, v34, v84 dst_sel:DWORD dst_unused:UNUSED_PAD src0_sel:DWORD src1_sel:WORD_1
	v_fma_f16 v34, v58, v84, v34
	v_lshrrev_b32_e32 v58, 16, v35
	v_pack_b32_f16 v34, v59, v34
	s_waitcnt vmcnt(0)
	v_mul_f16_sdwa v59, v58, v85 dst_sel:DWORD dst_unused:UNUSED_PAD src0_sel:DWORD src1_sel:WORD_1
	v_fma_f16 v59, v35, v85, -v59
	v_mul_f16_sdwa v35, v35, v85 dst_sel:DWORD dst_unused:UNUSED_PAD src0_sel:DWORD src1_sel:WORD_1
	v_fma_f16 v35, v58, v85, v35
	v_pack_b32_f16 v35, v59, v35
	ds_write2_b32 v62, v34, v35 offset0:40 offset1:128
.LBB0_13:
	s_or_b64 exec, exec, s[4:5]
	s_waitcnt lgkmcnt(0)
	s_barrier
	s_and_saveexec_b64 s[2:3], vcc
	s_cbranch_execz .LBB0_15
; %bb.14:
	v_add_u32_e32 v16, 0x200, v37
	ds_read2_b32 v[26:27], v16 offset0:48 offset1:136
	v_add_u32_e32 v16, 0x400, v37
	ds_read2_b32 v[28:29], v16 offset0:96 offset1:184
	;; [unrolled: 2-line block ×6, first 2 shown]
	v_add_u32_e32 v16, 0x1200, v37
	ds_read2_b32 v[24:25], v37 offset1:88
	ds_read2_b32 v[16:17], v16 offset0:80 offset1:168
	ds_read_b32 v42, v37 offset:5632
	s_waitcnt lgkmcnt(8)
	v_lshrrev_b32_e32 v49, 16, v26
	v_lshrrev_b32_e32 v50, 16, v27
	s_waitcnt lgkmcnt(2)
	v_lshrrev_b32_e32 v47, 16, v24
	v_lshrrev_b32_e32 v48, 16, v25
	;; [unrolled: 1-line block ×12, first 2 shown]
	s_waitcnt lgkmcnt(1)
	v_lshrrev_b32_e32 v41, 16, v16
	v_lshrrev_b32_e32 v40, 16, v17
	s_waitcnt lgkmcnt(0)
	v_lshrrev_b32_e32 v39, 16, v42
.LBB0_15:
	s_or_b64 exec, exec, s[2:3]
	v_sub_f16_e32 v80, v48, v39
	v_add_f16_e32 v62, v42, v25
	v_add_f16_e32 v81, v39, v48
	s_mov_b32 s4, 0xbacd
	v_mul_f16_e32 v79, 0xb836, v80
	v_sub_f16_e32 v82, v49, v40
	v_sub_f16_e32 v63, v25, v42
	s_mov_b32 s14, 0xb836
	v_mul_f16_e32 v78, 0xbacd, v81
	v_fma_f16 v34, v62, s4, -v79
	v_add_f16_e32 v64, v17, v26
	v_add_f16_e32 v83, v40, v49
	s_movk_i32 s16, 0x3722
	v_mul_f16_e32 v96, 0x3b29, v82
	v_add_f16_e32 v34, v24, v34
	v_fma_f16 v35, v63, s14, v78
	v_sub_f16_e32 v65, v26, v17
	s_movk_i32 s21, 0x3b29
	v_mul_f16_e32 v97, 0x3722, v83
	v_fma_f16 v66, v64, s16, -v96
	v_add_f16_e32 v35, v47, v35
	v_mul_f16_e32 v58, 0xb1e1, v80
	s_mov_b32 s5, 0xbbdd
	v_add_f16_e32 v34, v66, v34
	v_fma_f16 v66, v65, s21, v97
	v_fma_f16 v59, v62, s5, v58
	v_add_f16_e32 v35, v66, v35
	v_mul_f16_e32 v66, 0x35c8, v82
	s_movk_i32 s17, 0x3b76
	s_mov_b32 s15, 0xb1e1
	v_add_f16_e32 v59, v24, v59
	v_mul_f16_e32 v60, 0xbbdd, v81
	s_movk_i32 s25, 0x31e1
	v_fma_f16 v58, v62, s5, -v58
	v_fma_f16 v67, v64, s17, v66
	v_fma_f16 v61, v63, s25, v60
	v_add_f16_e32 v58, v24, v58
	v_fma_f16 v60, v63, s15, v60
	s_movk_i32 s23, 0x35c8
	v_add_f16_e32 v59, v67, v59
	v_mul_f16_e32 v67, 0x3b76, v83
	v_fma_f16 v66, v64, s17, -v66
	v_add_f16_e32 v60, v47, v60
	s_mov_b32 s19, 0xb5c8
	v_add_f16_e32 v58, v66, v58
	v_fma_f16 v66, v65, s23, v67
	v_sub_f16_e32 v84, v50, v41
	v_add_f16_e32 v61, v47, v61
	v_fma_f16 v68, v65, s19, v67
	v_add_f16_e32 v60, v66, v60
	v_add_f16_e32 v66, v16, v27
	;; [unrolled: 1-line block ×3, first 2 shown]
	s_movk_i32 s18, 0x2de8
	v_mul_f16_e32 v98, 0xbbf7, v84
	v_add_f16_e32 v61, v68, v61
	v_sub_f16_e32 v67, v27, v16
	s_mov_b32 s20, 0xbbf7
	v_mul_f16_e32 v99, 0x2de8, v86
	v_fma_f16 v68, v66, s18, -v98
	v_add_f16_e32 v34, v68, v34
	v_fma_f16 v68, v67, s20, v99
	v_add_f16_e32 v35, v68, v35
	v_mul_f16_e32 v68, 0xb836, v84
	v_fma_f16 v69, v66, s4, v68
	v_add_f16_e32 v59, v69, v59
	v_mul_f16_e32 v69, 0xbacd, v86
	v_fma_f16 v68, v66, s4, -v68
	s_movk_i32 s27, 0x3836
	v_add_f16_e32 v58, v68, v58
	v_fma_f16 v68, v67, s14, v69
	v_sub_f16_e32 v85, v52, v44
	v_fma_f16 v70, v67, s27, v69
	v_add_f16_e32 v60, v68, v60
	v_add_f16_e32 v68, v19, v28
	;; [unrolled: 1-line block ×3, first 2 shown]
	s_mov_b32 s22, 0xb8d2
	v_mul_f16_e32 v100, 0x3a62, v85
	v_add_f16_e32 v61, v70, v61
	v_sub_f16_e32 v69, v28, v19
	s_movk_i32 s34, 0x3a62
	v_mul_f16_e32 v101, 0xb8d2, v87
	v_fma_f16 v70, v68, s22, -v100
	v_add_f16_e32 v34, v70, v34
	v_fma_f16 v70, v69, s34, v101
	v_add_f16_e32 v35, v70, v35
	v_mul_f16_e32 v70, 0x3964, v85
	s_movk_i32 s24, 0x39e9
	v_fma_f16 v71, v68, s24, v70
	s_movk_i32 s31, 0x3964
	v_add_f16_e32 v59, v71, v59
	v_mul_f16_e32 v71, 0x39e9, v87
	v_fma_f16 v70, v68, s24, -v70
	s_mov_b32 s26, 0xb964
	v_add_f16_e32 v58, v70, v58
	v_fma_f16 v70, v69, s31, v71
	v_sub_f16_e32 v88, v54, v45
	v_fma_f16 v72, v69, s26, v71
	v_add_f16_e32 v60, v70, v60
	v_add_f16_e32 v70, v18, v29
	;; [unrolled: 1-line block ×3, first 2 shown]
	v_mul_f16_e32 v102, 0xb5c8, v88
	v_add_f16_e32 v61, v72, v61
	v_sub_f16_e32 v71, v29, v18
	v_mul_f16_e32 v103, 0x3b76, v90
	v_fma_f16 v72, v70, s17, -v102
	v_add_f16_e32 v34, v72, v34
	v_fma_f16 v72, v71, s19, v103
	v_add_f16_e32 v35, v72, v35
	v_mul_f16_e32 v72, 0xba62, v88
	v_fma_f16 v73, v70, s22, v72
	s_mov_b32 s28, 0xba62
	v_add_f16_e32 v59, v73, v59
	v_mul_f16_e32 v73, 0xb8d2, v90
	v_fma_f16 v72, v70, s22, -v72
	v_add_f16_e32 v58, v72, v58
	v_fma_f16 v72, v71, s28, v73
	v_sub_f16_e32 v89, v57, v43
	v_fma_f16 v74, v71, s34, v73
	v_add_f16_e32 v60, v72, v60
	v_add_f16_e32 v72, v21, v32
	;; [unrolled: 1-line block ×3, first 2 shown]
	v_mul_f16_e32 v104, 0xb1e1, v89
	v_add_f16_e32 v61, v74, v61
	v_sub_f16_e32 v73, v32, v21
	v_mul_f16_e32 v105, 0xbbdd, v92
	v_fma_f16 v74, v72, s5, -v104
	v_add_f16_e32 v34, v74, v34
	v_fma_f16 v74, v73, s15, v105
	v_add_f16_e32 v35, v74, v35
	v_mul_f16_e32 v74, 0x3b29, v89
	v_fma_f16 v75, v72, s16, v74
	v_add_f16_e32 v59, v75, v59
	v_mul_f16_e32 v75, 0x3722, v92
	v_fma_f16 v74, v72, s16, -v74
	s_mov_b32 s30, 0xbb29
	v_add_f16_e32 v58, v74, v58
	v_fma_f16 v74, v73, s21, v75
	v_sub_f16_e32 v91, v56, v51
	v_fma_f16 v76, v73, s30, v75
	v_add_f16_e32 v60, v74, v60
	v_add_f16_e32 v74, v20, v33
	;; [unrolled: 1-line block ×3, first 2 shown]
	v_mul_f16_e32 v106, 0x3964, v91
	v_add_f16_e32 v61, v76, v61
	v_sub_f16_e32 v75, v33, v20
	v_mul_f16_e32 v107, 0x39e9, v94
	v_fma_f16 v76, v74, s24, -v106
	v_add_f16_e32 v34, v76, v34
	v_fma_f16 v76, v75, s31, v107
	v_add_f16_e32 v35, v76, v35
	v_mul_f16_e32 v76, 0xbbb2, v91
	s_mov_b32 s29, 0xb461
	v_fma_f16 v77, v74, s29, v76
	v_add_f16_e32 v110, v77, v59
	v_mul_f16_e32 v59, 0xb461, v94
	s_movk_i32 s35, 0x3bb2
	v_fma_f16 v77, v75, s35, v59
	s_mov_b32 s33, 0xbbb2
	v_add_f16_e32 v111, v77, v61
	v_fma_f16 v61, v74, s29, -v76
	v_sub_f16_e32 v93, v55, v53
	v_add_f16_e32 v112, v61, v58
	v_fma_f16 v58, v75, s33, v59
	v_add_f16_e32 v76, v31, v30
	v_add_f16_e32 v95, v53, v55
	v_mul_f16_e32 v108, 0xbbb2, v93
	v_add_f16_e32 v60, v58, v60
	v_sub_f16_e32 v77, v30, v31
	v_mul_f16_e32 v109, 0xb461, v95
	v_fma_f16 v58, v76, s29, -v108
	v_add_f16_e32 v59, v58, v34
	v_fma_f16 v34, v77, s33, v109
	v_add_f16_e32 v61, v34, v35
	v_mul_f16_e32 v35, 0x3bf7, v93
	v_fma_f16 v34, v76, s18, v35
	s_movk_i32 s36, 0x3bf7
	v_add_f16_e32 v34, v34, v110
	v_mul_f16_e32 v110, 0x2de8, v95
	v_fma_f16 v58, v77, s20, v110
	v_fma_f16 v35, v76, s18, -v35
	v_fma_f16 v110, v77, s36, v110
	v_add_f16_e32 v58, v58, v111
	v_add_f16_e32 v35, v35, v112
	;; [unrolled: 1-line block ×3, first 2 shown]
	s_barrier
	s_and_saveexec_b64 s[2:3], vcc
	s_cbranch_execz .LBB0_17
; %bb.16:
	v_mul_f16_e32 v110, 0xbacd, v62
	v_mul_f16_e32 v111, 0xb836, v63
	;; [unrolled: 1-line block ×3, first 2 shown]
	v_add_f16_e32 v79, v110, v79
	v_mul_f16_e32 v113, 0x3b29, v65
	v_mul_f16_e32 v114, 0x2de8, v66
	v_sub_f16_e32 v78, v78, v111
	v_add_f16_e32 v79, v24, v79
	v_add_f16_e32 v96, v112, v96
	v_mul_f16_e32 v115, 0xbbf7, v67
	v_mul_f16_e32 v116, 0xb8d2, v68
	v_add_f16_e32 v78, v47, v78
	v_sub_f16_e32 v97, v97, v113
	v_add_f16_e32 v79, v96, v79
	v_add_f16_e32 v96, v114, v98
	v_mul_f16_e32 v117, 0x3a62, v69
	v_mul_f16_e32 v118, 0x3b76, v70
	v_add_f16_e32 v78, v97, v78
	;; [unrolled: 6-line block ×5, first 2 shown]
	v_sub_f16_e32 v97, v105, v121
	v_add_f16_e32 v79, v96, v79
	v_add_f16_e32 v96, v122, v106
	v_mul_f16_e32 v125, 0xbbb2, v77
	v_add_f16_e32 v78, v97, v78
	v_sub_f16_e32 v97, v107, v123
	v_add_f16_e32 v79, v96, v79
	v_add_f16_e32 v96, v124, v108
	;; [unrolled: 1-line block ×3, first 2 shown]
	v_sub_f16_e32 v97, v109, v125
	v_add_f16_e32 v79, v96, v79
	v_mul_f16_e32 v96, 0xb8d2, v81
	v_add_f16_e32 v78, v97, v78
	v_fma_f16 v97, v63, s34, v96
	v_mul_f16_e32 v98, 0xb461, v83
	v_add_f16_e32 v97, v47, v97
	v_fma_f16 v99, v65, s33, v98
	v_add_f16_e32 v97, v99, v97
	v_mul_f16_e32 v99, 0x3b76, v86
	v_fma_f16 v100, v67, s23, v99
	v_add_f16_e32 v97, v100, v97
	v_mul_f16_e32 v100, 0xbacd, v87
	v_fma_f16 v101, v69, s27, v100
	v_add_f16_e32 v97, v101, v97
	v_mul_f16_e32 v101, 0x2de8, v90
	v_fma_f16 v102, v71, s20, v101
	v_add_f16_e32 v97, v102, v97
	v_mul_f16_e32 v102, 0x39e9, v92
	v_fma_f16 v103, v73, s31, v102
	v_add_f16_e32 v97, v103, v97
	v_mul_f16_e32 v103, 0xbbdd, v94
	v_fma_f16 v104, v75, s25, v103
	v_add_f16_e32 v97, v104, v97
	v_mul_f16_e32 v104, 0x3722, v95
	v_fma_f16 v105, v77, s30, v104
	v_add_f16_e32 v97, v105, v97
	v_mul_f16_e32 v105, 0xba62, v80
	v_fma_f16 v106, v62, s22, v105
	v_mul_f16_e32 v107, 0x3bb2, v82
	v_add_f16_e32 v106, v24, v106
	v_fma_f16 v108, v64, s29, v107
	v_add_f16_e32 v106, v108, v106
	v_mul_f16_e32 v108, 0xb5c8, v84
	v_fma_f16 v109, v66, s17, v108
	v_add_f16_e32 v106, v109, v106
	v_mul_f16_e32 v109, 0xb836, v85
	v_fma_f16 v110, v68, s4, v109
	v_add_f16_e32 v106, v110, v106
	v_mul_f16_e32 v110, 0x3bf7, v88
	v_fma_f16 v111, v70, s18, v110
	v_add_f16_e32 v106, v111, v106
	v_mul_f16_e32 v111, 0xb964, v89
	v_fma_f16 v112, v72, s24, v111
	v_add_f16_e32 v106, v112, v106
	v_mul_f16_e32 v112, 0xb1e1, v91
	v_fma_f16 v113, v74, s5, v112
	v_add_f16_e32 v106, v113, v106
	v_mul_f16_e32 v113, 0x3b29, v93
	v_fma_f16 v114, v76, s16, v113
	v_add_f16_e32 v106, v114, v106
	v_mul_f16_e32 v114, 0xb461, v81
	;; [unrolled: 24-line block ×3, first 2 shown]
	v_fma_f16 v124, v62, s29, v123
	v_mul_f16_e32 v125, 0x3836, v82
	v_add_f16_e32 v124, v24, v124
	v_fma_f16 v126, v64, s4, v125
	v_add_f16_e32 v124, v126, v124
	v_mul_f16_e32 v126, 0x3964, v84
	v_fma_f16 v127, v66, s24, v126
	v_add_f16_e32 v124, v127, v124
	v_mul_f16_e32 v127, 0xbb29, v85
	;; [unrolled: 3-line block ×6, first 2 shown]
	v_add_f16_e32 v25, v25, v24
	v_fma_f16 v132, v76, s22, v131
	v_add_f16_e32 v25, v26, v25
	v_add_f16_e32 v124, v132, v124
	v_mul_f16_e32 v132, 0x2de8, v81
	v_add_f16_e32 v25, v27, v25
	v_fma_f16 v133, v63, s36, v132
	v_mul_f16_e32 v134, 0xbbdd, v83
	v_add_f16_e32 v25, v28, v25
	v_add_f16_e32 v133, v47, v133
	v_fma_f16 v135, v65, s25, v134
	v_add_f16_e32 v25, v29, v25
	v_add_f16_e32 v133, v135, v133
	v_mul_f16_e32 v135, 0xb461, v86
	v_add_f16_e32 v25, v32, v25
	v_fma_f16 v136, v67, s33, v135
	v_add_f16_e32 v25, v33, v25
	v_add_f16_e32 v133, v136, v133
	v_mul_f16_e32 v136, 0x3b76, v87
	;; [unrolled: 5-line block ×5, first 2 shown]
	v_add_f16_e32 v16, v16, v18
	v_fma_f16 v18, v63, s28, v96
	v_fma_f16 v140, v75, s28, v139
	v_add_f16_e32 v18, v47, v18
	v_fma_f16 v19, v65, s35, v98
	v_add_f16_e32 v133, v140, v133
	v_mul_f16_e32 v140, 0x39e9, v95
	v_add_f16_e32 v18, v19, v18
	v_fma_f16 v19, v67, s19, v99
	v_fma_f16 v141, v77, s26, v140
	v_add_f16_e32 v18, v19, v18
	v_fma_f16 v19, v69, s14, v100
	v_add_f16_e32 v133, v141, v133
	v_mul_f16_e32 v141, 0xbbf7, v80
	v_add_f16_e32 v18, v19, v18
	v_fma_f16 v19, v71, s36, v101
	v_fma_f16 v142, v62, s18, v141
	v_mul_f16_e32 v143, 0xb1e1, v82
	v_add_f16_e32 v18, v19, v18
	v_fma_f16 v19, v73, s26, v102
	v_add_f16_e32 v142, v24, v142
	v_fma_f16 v144, v64, s5, v143
	;; [unrolled: 2-line block ×3, first 2 shown]
	v_add_f16_e32 v142, v144, v142
	v_mul_f16_e32 v144, 0x3bb2, v84
	v_add_f16_e32 v18, v19, v18
	v_fma_f16 v19, v77, s21, v104
	v_fma_f16 v145, v66, s29, v144
	v_add_f16_e32 v18, v19, v18
	v_fma_f16 v19, v62, s22, -v105
	v_add_f16_e32 v142, v145, v142
	v_mul_f16_e32 v145, 0x35c8, v85
	v_add_f16_e32 v19, v24, v19
	v_fma_f16 v20, v64, s29, -v107
	v_fma_f16 v146, v68, s17, v145
	v_add_f16_e32 v19, v20, v19
	v_fma_f16 v20, v66, s17, -v108
	v_add_f16_e32 v142, v146, v142
	v_mul_f16_e32 v146, 0xbb29, v88
	v_add_f16_e32 v19, v20, v19
	v_fma_f16 v20, v68, s4, -v109
	v_fma_f16 v147, v70, s16, v146
	v_add_f16_e32 v19, v20, v19
	v_fma_f16 v20, v70, s18, -v110
	v_add_f16_e32 v142, v147, v142
	v_mul_f16_e32 v147, 0xb836, v89
	v_add_f16_e32 v19, v20, v19
	v_fma_f16 v20, v72, s24, -v111
	v_fma_f16 v148, v72, s4, v147
	v_add_f16_e32 v19, v20, v19
	v_fma_f16 v20, v74, s5, -v112
	v_add_f16_e32 v142, v148, v142
	v_mul_f16_e32 v148, 0x3a62, v91
	v_add_f16_e32 v19, v20, v19
	v_fma_f16 v20, v76, s16, -v113
	v_fma_f16 v149, v74, s22, v148
	v_add_f16_e32 v19, v20, v19
	v_fma_f16 v20, v63, s33, v114
	v_add_f16_e32 v142, v149, v142
	v_mul_f16_e32 v149, 0x3964, v93
	v_add_f16_e32 v20, v47, v20
	v_fma_f16 v21, v65, s27, v116
	v_fma_f16 v150, v76, s24, v149
	v_add_f16_e32 v20, v21, v20
	v_fma_f16 v21, v67, s31, v117
	v_add_f16_e32 v142, v150, v142
	v_mul_f16_e32 v150, 0x3722, v81
	v_add_f16_e32 v20, v21, v20
	v_fma_f16 v21, v69, s30, v118
	v_fma_f16 v151, v63, s21, v150
	v_mul_f16_e32 v152, 0xb8d2, v83
	v_add_f16_e32 v20, v21, v20
	v_fma_f16 v21, v71, s15, v119
	v_add_f16_e32 v151, v47, v151
	v_fma_f16 v153, v65, s34, v152
	;; [unrolled: 2-line block ×3, first 2 shown]
	v_add_f16_e32 v151, v153, v151
	v_mul_f16_e32 v153, 0xbbdd, v86
	v_add_f16_e32 v20, v21, v20
	v_fma_f16 v21, v75, s19, v121
	v_fma_f16 v154, v67, s15, v153
	v_add_f16_e32 v20, v21, v20
	v_fma_f16 v21, v77, s28, v122
	v_add_f16_e32 v151, v154, v151
	v_mul_f16_e32 v154, 0xb461, v87
	v_add_f16_e32 v20, v21, v20
	v_fma_f16 v21, v62, s29, -v123
	v_fma_f16 v155, v69, s33, v154
	v_add_f16_e32 v21, v24, v21
	v_fma_f16 v25, v64, s4, -v125
	v_add_f16_e32 v151, v155, v151
	v_mul_f16_e32 v155, 0x39e9, v90
	v_add_f16_e32 v21, v25, v21
	v_fma_f16 v25, v66, s24, -v126
	v_fma_f16 v156, v71, s26, v155
	v_add_f16_e32 v21, v25, v21
	v_fma_f16 v25, v68, s16, -v127
	;; [unrolled: 7-line block ×4, first 2 shown]
	v_add_f16_e32 v151, v158, v151
	v_mul_f16_e32 v158, 0xbacd, v95
	v_add_f16_e32 v21, v25, v21
	v_fma_f16 v25, v63, s20, v132
	v_fma_f16 v159, v77, s27, v158
	v_add_f16_e32 v25, v47, v25
	v_fma_f16 v26, v65, s15, v134
	v_add_f16_e32 v151, v159, v151
	v_mul_f16_e32 v159, 0xbb29, v80
	v_add_f16_e32 v25, v26, v25
	v_fma_f16 v26, v67, s35, v135
	v_fma_f16 v160, v62, s16, v159
	v_mul_f16_e32 v161, 0xba62, v82
	v_add_f16_e32 v25, v26, v25
	v_fma_f16 v26, v69, s23, v136
	v_add_f16_e32 v160, v24, v160
	v_fma_f16 v162, v64, s22, v161
	;; [unrolled: 2-line block ×3, first 2 shown]
	v_add_f16_e32 v160, v162, v160
	v_mul_f16_e32 v162, 0x31e1, v84
	v_add_f16_e32 v25, v26, v25
	v_fma_f16 v26, v73, s14, v138
	v_fma_f16 v163, v66, s5, v162
	v_add_f16_e32 v25, v26, v25
	v_fma_f16 v26, v75, s34, v139
	v_add_f16_e32 v160, v163, v160
	v_mul_f16_e32 v163, 0x3bb2, v85
	v_add_f16_e32 v25, v26, v25
	v_fma_f16 v26, v77, s31, v140
	v_fma_f16 v164, v68, s29, v163
	v_add_f16_e32 v25, v26, v25
	v_fma_f16 v26, v62, s18, -v141
	v_add_f16_e32 v160, v164, v160
	v_mul_f16_e32 v164, 0x3964, v88
	v_add_f16_e32 v26, v24, v26
	v_fma_f16 v27, v64, s5, -v143
	v_fma_f16 v165, v70, s24, v164
	v_add_f16_e32 v26, v27, v26
	v_fma_f16 v27, v66, s29, -v144
	v_add_f16_e32 v160, v165, v160
	v_mul_f16_e32 v165, 0xb5c8, v89
	v_add_f16_e32 v26, v27, v26
	v_fma_f16 v27, v68, s17, -v145
	;; [unrolled: 7-line block ×4, first 2 shown]
	v_fma_f16 v168, v76, s4, v167
	v_add_f16_e32 v26, v27, v26
	v_fma_f16 v27, v63, s30, v150
	v_add_f16_e32 v160, v168, v160
	v_mul_f16_e32 v168, 0x39e9, v81
	v_add_f16_e32 v27, v47, v27
	v_fma_f16 v28, v65, s28, v152
	v_fma_f16 v169, v63, s31, v168
	v_mul_f16_e32 v170, 0x2de8, v83
	v_add_f16_e32 v27, v28, v27
	v_fma_f16 v28, v67, s25, v153
	v_add_f16_e32 v169, v47, v169
	v_fma_f16 v171, v65, s36, v170
	v_add_f16_e32 v27, v28, v27
	v_fma_f16 v28, v69, s35, v154
	v_add_f16_e32 v169, v171, v169
	v_mul_f16_e32 v171, 0xb8d2, v86
	v_add_f16_e32 v27, v28, v27
	v_fma_f16 v28, v71, s31, v155
	v_fma_f16 v172, v67, s34, v171
	v_add_f16_e32 v27, v28, v27
	v_fma_f16 v28, v73, s19, v156
	v_add_f16_e32 v169, v172, v169
	v_mul_f16_e32 v172, 0xbbdd, v87
	v_add_f16_e32 v27, v28, v27
	v_fma_f16 v28, v75, s20, v157
	v_fma_f16 v173, v69, s25, v172
	v_add_f16_e32 v27, v28, v27
	v_fma_f16 v28, v77, s14, v158
	v_add_f16_e32 v169, v173, v169
	v_mul_f16_e32 v173, 0xbacd, v90
	v_add_f16_e32 v27, v28, v27
	v_fma_f16 v28, v62, s16, -v159
	v_fma_f16 v174, v71, s14, v173
	v_add_f16_e32 v28, v24, v28
	v_fma_f16 v29, v64, s22, -v161
	v_add_f16_e32 v169, v174, v169
	v_mul_f16_e32 v174, 0xb461, v92
	v_add_f16_e32 v28, v29, v28
	v_fma_f16 v29, v66, s5, -v162
	v_fma_f16 v175, v73, s33, v174
	v_add_f16_e32 v28, v29, v28
	v_fma_f16 v29, v68, s29, -v163
	v_add_f16_e32 v169, v175, v169
	v_mul_f16_e32 v175, 0x3722, v94
	v_add_f16_e32 v28, v29, v28
	v_fma_f16 v29, v70, s24, -v164
	v_fma_f16 v176, v75, s30, v175
	v_add_f16_e32 v28, v29, v28
	v_fma_f16 v29, v72, s17, -v165
	v_add_f16_e32 v169, v176, v169
	v_mul_f16_e32 v176, 0x3b76, v95
	v_add_f16_e32 v28, v29, v28
	v_fma_f16 v29, v74, s18, -v166
	v_fma_f16 v177, v77, s19, v176
	v_add_f16_e32 v28, v29, v28
	v_fma_f16 v29, v76, s4, -v167
	v_add_f16_e32 v169, v177, v169
	v_mul_f16_e32 v177, 0xb964, v80
	v_add_f16_e32 v28, v29, v28
	v_fma_f16 v29, v63, s26, v168
	v_fma_f16 v178, v62, s24, v177
	v_mul_f16_e32 v179, 0xbbf7, v82
	v_add_f16_e32 v29, v47, v29
	v_fma_f16 v30, v65, s20, v170
	v_add_f16_e32 v178, v24, v178
	v_fma_f16 v180, v64, s18, v179
	;; [unrolled: 2-line block ×3, first 2 shown]
	v_add_f16_e32 v178, v180, v178
	v_mul_f16_e32 v180, 0xba62, v84
	v_add_f16_e32 v29, v30, v29
	v_fma_f16 v30, v69, s15, v172
	v_fma_f16 v181, v66, s22, v180
	v_add_f16_e32 v29, v30, v29
	v_fma_f16 v30, v71, s27, v173
	v_add_f16_e32 v178, v181, v178
	v_mul_f16_e32 v181, 0xb1e1, v85
	v_add_f16_e32 v29, v30, v29
	v_fma_f16 v30, v73, s35, v174
	v_fma_f16 v182, v68, s5, v181
	v_add_f16_e32 v29, v30, v29
	v_fma_f16 v30, v75, s21, v175
	v_add_f16_e32 v178, v182, v178
	v_mul_f16_e32 v182, 0x3836, v88
	v_add_f16_e32 v29, v30, v29
	v_fma_f16 v30, v77, s23, v176
	v_fma_f16 v183, v70, s4, v182
	v_add_f16_e32 v29, v30, v29
	v_fma_f16 v30, v62, s24, -v177
	v_add_f16_e32 v178, v183, v178
	v_mul_f16_e32 v183, 0x3bb2, v89
	v_add_f16_e32 v30, v24, v30
	v_fma_f16 v31, v64, s18, -v179
	v_fma_f16 v184, v72, s29, v183
	v_add_f16_e32 v30, v31, v30
	v_fma_f16 v31, v66, s22, -v180
	v_add_f16_e32 v178, v184, v178
	v_mul_f16_e32 v184, 0x3b29, v91
	v_add_f16_e32 v30, v31, v30
	v_fma_f16 v31, v68, s5, -v181
	;; [unrolled: 7-line block ×3, first 2 shown]
	v_fma_f16 v186, v76, s17, v185
	v_mul_f16_e32 v81, 0x3b76, v81
	v_add_f16_e32 v30, v31, v30
	v_fma_f16 v31, v74, s16, -v184
	v_add_f16_e32 v178, v186, v178
	v_fma_f16 v186, v63, s23, v81
	v_mul_f16_e32 v83, 0x39e9, v83
	v_add_f16_e32 v30, v31, v30
	v_fma_f16 v31, v76, s17, -v185
	v_add_f16_e32 v186, v47, v186
	v_fma_f16 v187, v65, s31, v83
	v_mul_f16_e32 v86, 0x3722, v86
	v_add_f16_e32 v16, v17, v16
	v_add_f16_e32 v17, v48, v47
	;; [unrolled: 1-line block ×3, first 2 shown]
	v_fma_f16 v31, v63, s19, v81
	v_add_f16_e32 v186, v187, v186
	v_fma_f16 v187, v67, s21, v86
	v_mul_f16_e32 v87, 0x2de8, v87
	v_add_f16_e32 v17, v49, v17
	v_add_f16_e32 v31, v47, v31
	v_fma_f16 v32, v65, s26, v83
	v_add_f16_e32 v186, v187, v186
	v_fma_f16 v187, v69, s36, v87
	v_mul_f16_e32 v90, 0xb461, v90
	v_add_f16_e32 v17, v50, v17
	v_add_f16_e32 v31, v32, v31
	;; [unrolled: 6-line block ×8, first 2 shown]
	v_fma_f16 v32, v62, s17, -v80
	v_add_f16_e32 v187, v188, v187
	v_fma_f16 v188, v66, s16, v84
	v_mul_f16_e32 v85, 0xbbf7, v85
	v_add_f16_e32 v17, v51, v17
	v_add_f16_e32 v24, v24, v32
	v_fma_f16 v32, v64, s24, -v82
	v_add_f16_e32 v187, v188, v187
	v_fma_f16 v188, v68, s18, v85
	v_mul_f16_e32 v88, 0xbbb2, v88
	v_add_f16_e32 v17, v43, v17
	v_add_f16_e32 v24, v32, v24
	;; [unrolled: 6-line block ×5, first 2 shown]
	v_fma_f16 v32, v72, s22, -v89
	v_add_f16_e32 v187, v188, v187
	v_fma_f16 v188, v76, s5, v93
	v_add_f16_e32 v17, v40, v17
	v_add_f16_e32 v24, v32, v24
	v_fma_f16 v32, v74, s4, -v91
	v_add_f16_e32 v187, v188, v187
	v_add_f16_e32 v16, v42, v16
	;; [unrolled: 1-line block ×4, first 2 shown]
	v_fma_f16 v32, v76, s5, -v93
	v_add_f16_e32 v24, v32, v24
	v_lshlrev_b32_e32 v32, 2, v38
	v_pack_b32_f16 v33, v187, v186
	v_pack_b32_f16 v16, v16, v17
	ds_write2_b32 v32, v16, v33 offset1:1
	v_pack_b32_f16 v16, v160, v151
	v_pack_b32_f16 v17, v178, v169
	ds_write2_b32 v32, v17, v16 offset0:2 offset1:3
	v_pack_b32_f16 v16, v124, v115
	v_pack_b32_f16 v17, v142, v133
	ds_write2_b32 v32, v17, v16 offset0:4 offset1:5
	v_pack_b32_f16 v16, v79, v78
	v_pack_b32_f16 v17, v106, v97
	s_mov_b32 s4, 0x5040100
	ds_write2_b32 v32, v17, v16 offset0:6 offset1:7
	v_perm_b32 v16, v60, v35, s4
	v_perm_b32 v17, v58, v34, s4
	ds_write2_b32 v32, v17, v16 offset0:8 offset1:9
	v_pack_b32_f16 v16, v19, v18
	v_perm_b32 v17, v61, v59, s4
	ds_write2_b32 v32, v17, v16 offset0:10 offset1:11
	v_pack_b32_f16 v16, v26, v25
	v_pack_b32_f16 v17, v21, v20
	ds_write2_b32 v32, v17, v16 offset0:12 offset1:13
	v_pack_b32_f16 v16, v30, v29
	v_pack_b32_f16 v17, v28, v27
	ds_write2_b32 v32, v17, v16 offset0:14 offset1:15
	v_pack_b32_f16 v16, v24, v31
	ds_write_b32 v32, v16 offset:64
.LBB0_17:
	s_or_b64 exec, exec, s[2:3]
	s_waitcnt lgkmcnt(0)
	s_barrier
	ds_read2_b32 v[16:17], v37 offset1:187
	v_add_u32_e32 v18, 0x500, v37
	ds_read2_b32 v[18:19], v18 offset0:54 offset1:241
	v_add_u32_e32 v20, 0xb00, v37
	ds_read2_b32 v[20:21], v20 offset0:44 offset1:231
	s_waitcnt lgkmcnt(2)
	v_lshrrev_b32_e32 v27, 16, v17
	v_mul_f16_sdwa v38, v0, v27 dst_sel:DWORD dst_unused:UNUSED_PAD src0_sel:WORD_1 src1_sel:DWORD
	s_waitcnt lgkmcnt(1)
	v_lshrrev_b32_e32 v28, 16, v18
	v_fma_f16 v38, v0, v17, v38
	v_mul_f16_sdwa v17, v0, v17 dst_sel:DWORD dst_unused:UNUSED_PAD src0_sel:WORD_1 src1_sel:DWORD
	v_fma_f16 v0, v0, v27, -v17
	v_mul_f16_sdwa v17, v1, v28 dst_sel:DWORD dst_unused:UNUSED_PAD src0_sel:WORD_1 src1_sel:DWORD
	v_add_u32_e32 v24, 0x1100, v37
	v_lshrrev_b32_e32 v29, 16, v19
	v_fma_f16 v17, v1, v18, v17
	v_mul_f16_sdwa v18, v1, v18 dst_sel:DWORD dst_unused:UNUSED_PAD src0_sel:WORD_1 src1_sel:DWORD
	ds_read2_b32 v[24:25], v24 offset0:34 offset1:221
	v_fma_f16 v1, v1, v28, -v18
	v_mul_f16_sdwa v18, v2, v29 dst_sel:DWORD dst_unused:UNUSED_PAD src0_sel:WORD_1 src1_sel:DWORD
	s_waitcnt lgkmcnt(1)
	v_lshrrev_b32_e32 v30, 16, v20
	v_fma_f16 v18, v2, v19, v18
	v_mul_f16_sdwa v19, v2, v19 dst_sel:DWORD dst_unused:UNUSED_PAD src0_sel:WORD_1 src1_sel:DWORD
	v_fma_f16 v2, v2, v29, -v19
	v_mul_f16_sdwa v19, v3, v30 dst_sel:DWORD dst_unused:UNUSED_PAD src0_sel:WORD_1 src1_sel:DWORD
	v_lshrrev_b32_e32 v31, 16, v21
	v_fma_f16 v19, v3, v20, v19
	v_mul_f16_sdwa v20, v3, v20 dst_sel:DWORD dst_unused:UNUSED_PAD src0_sel:WORD_1 src1_sel:DWORD
	v_fma_f16 v3, v3, v30, -v20
	v_mul_f16_sdwa v20, v12, v31 dst_sel:DWORD dst_unused:UNUSED_PAD src0_sel:WORD_1 src1_sel:DWORD
	s_waitcnt lgkmcnt(0)
	v_lshrrev_b32_e32 v32, 16, v24
	v_fma_f16 v20, v12, v21, v20
	v_mul_f16_sdwa v21, v12, v21 dst_sel:DWORD dst_unused:UNUSED_PAD src0_sel:WORD_1 src1_sel:DWORD
	v_fma_f16 v12, v12, v31, -v21
	v_mul_f16_sdwa v21, v13, v32 dst_sel:DWORD dst_unused:UNUSED_PAD src0_sel:WORD_1 src1_sel:DWORD
	v_lshrrev_b32_e32 v33, 16, v25
	v_fma_f16 v21, v13, v24, v21
	v_mul_f16_sdwa v24, v13, v24 dst_sel:DWORD dst_unused:UNUSED_PAD src0_sel:WORD_1 src1_sel:DWORD
	v_fma_f16 v13, v13, v32, -v24
	v_mul_f16_sdwa v24, v14, v33 dst_sel:DWORD dst_unused:UNUSED_PAD src0_sel:WORD_1 src1_sel:DWORD
	v_lshrrev_b32_e32 v26, 16, v16
	v_fma_f16 v24, v14, v25, v24
	v_mul_f16_sdwa v25, v14, v25 dst_sel:DWORD dst_unused:UNUSED_PAD src0_sel:WORD_1 src1_sel:DWORD
	v_fma_f16 v14, v14, v33, -v25
	v_sub_f16_e32 v19, v16, v19
	v_sub_f16_e32 v3, v26, v3
	;; [unrolled: 1-line block ×5, first 2 shown]
	v_fma_f16 v16, v16, 2.0, -v19
	v_fma_f16 v25, v26, 2.0, -v3
	v_sub_f16_e32 v13, v1, v13
	v_fma_f16 v17, v17, 2.0, -v21
	v_sub_f16_e32 v12, v0, v12
	;; [unrolled: 2-line block ×3, first 2 shown]
	v_fma_f16 v18, v18, 2.0, -v24
	v_fma_f16 v1, v1, 2.0, -v13
	;; [unrolled: 1-line block ×4, first 2 shown]
	v_sub_f16_e32 v17, v16, v17
	v_sub_f16_e32 v29, v26, v18
	;; [unrolled: 1-line block ×3, first 2 shown]
	v_fma_f16 v1, v16, 2.0, -v17
	v_add_f16_e32 v28, v19, v13
	v_sub_f16_e32 v21, v3, v21
	v_sub_f16_e32 v30, v0, v2
	v_fma_f16 v2, v26, 2.0, -v29
	v_add_f16_e32 v31, v20, v14
	v_sub_f16_e32 v32, v12, v24
	v_fma_f16 v16, v25, 2.0, -v27
	v_fma_f16 v13, v19, 2.0, -v28
	;; [unrolled: 1-line block ×6, first 2 shown]
	v_sub_f16_e32 v2, v1, v2
	s_mov_b32 s2, 0xb9a8
	v_sub_f16_e32 v18, v16, v0
	v_fma_f16 v0, v1, 2.0, -v2
	v_fma_f16 v1, v19, s2, v13
	v_fma_f16 v12, v3, s2, v25
	s_movk_i32 s3, 0x39a8
	v_fma_f16 v3, v3, s3, v1
	v_fma_f16 v19, v19, s2, v12
	v_add_f16_e32 v12, v17, v30
	v_fma_f16 v14, v16, 2.0, -v18
	v_fma_f16 v1, v13, 2.0, -v3
	;; [unrolled: 1-line block ×3, first 2 shown]
	v_fma_f16 v13, v31, s3, v28
	v_fma_f16 v17, v32, s3, v21
	v_fma_f16 v26, v25, 2.0, -v19
	v_sub_f16_e32 v20, v27, v29
	v_fma_f16 v13, v32, s3, v13
	v_fma_f16 v25, v31, s2, v17
	v_fma_f16 v24, v27, 2.0, -v20
	v_fma_f16 v17, v28, 2.0, -v13
	;; [unrolled: 1-line block ×3, first 2 shown]
	v_pack_b32_f16 v27, v0, v14
	v_pack_b32_f16 v28, v1, v26
	s_barrier
	ds_write2_b32 v46, v27, v28 offset1:17
	v_pack_b32_f16 v27, v16, v24
	v_pack_b32_f16 v28, v17, v21
	ds_write2_b32 v46, v27, v28 offset0:34 offset1:51
	v_pack_b32_f16 v27, v2, v18
	v_pack_b32_f16 v28, v3, v19
	ds_write2_b32 v46, v27, v28 offset0:68 offset1:85
	;; [unrolled: 3-line block ×3, first 2 shown]
	s_waitcnt lgkmcnt(0)
	s_barrier
	s_and_saveexec_b64 s[2:3], s[0:1]
	s_cbranch_execz .LBB0_19
; %bb.18:
	v_add_u32_e32 v2, 0x400, v37
	ds_read2_b32 v[16:17], v2 offset0:16 offset1:152
	v_add_u32_e32 v2, 0x800, v37
	v_add_u32_e32 v12, 0xc00, v37
	;; [unrolled: 1-line block ×3, first 2 shown]
	ds_read2_b32 v[0:1], v37 offset1:136
	ds_read2_b32 v[2:3], v2 offset0:32 offset1:168
	ds_read2_b32 v[12:13], v12 offset0:48 offset1:184
	;; [unrolled: 1-line block ×3, first 2 shown]
	ds_read_b32 v59, v37 offset:5440
	s_waitcnt lgkmcnt(4)
	v_lshrrev_b32_e32 v14, 16, v0
	v_lshrrev_b32_e32 v26, 16, v1
	v_lshrrev_b32_e32 v24, 16, v16
	v_lshrrev_b32_e32 v21, 16, v17
	s_waitcnt lgkmcnt(3)
	v_lshrrev_b32_e32 v18, 16, v2
	v_lshrrev_b32_e32 v19, 16, v3
	s_waitcnt lgkmcnt(2)
	v_lshrrev_b32_e32 v20, 16, v12
	v_lshrrev_b32_e32 v25, 16, v13
	;; [unrolled: 3-line block ×3, first 2 shown]
	s_waitcnt lgkmcnt(0)
	v_lshrrev_b32_e32 v61, 16, v59
.LBB0_19:
	s_or_b64 exec, exec, s[2:3]
	s_and_saveexec_b64 s[2:3], s[0:1]
	s_cbranch_execz .LBB0_21
; %bb.20:
	v_mul_f16_sdwa v27, v4, v26 dst_sel:DWORD dst_unused:UNUSED_PAD src0_sel:WORD_1 src1_sel:DWORD
	v_mul_f16_sdwa v28, v23, v61 dst_sel:DWORD dst_unused:UNUSED_PAD src0_sel:WORD_1 src1_sel:DWORD
	;; [unrolled: 1-line block ×3, first 2 shown]
	v_fma_f16 v27, v4, v1, v27
	v_fma_f16 v28, v23, v59, v28
	v_fma_f16 v23, v23, v61, -v31
	v_mul_f16_sdwa v1, v4, v1 dst_sel:DWORD dst_unused:UNUSED_PAD src0_sel:WORD_1 src1_sel:DWORD
	v_mul_f16_sdwa v31, v5, v24 dst_sel:DWORD dst_unused:UNUSED_PAD src0_sel:WORD_1 src1_sel:DWORD
	v_mul_f16_sdwa v32, v22, v60 dst_sel:DWORD dst_unused:UNUSED_PAD src0_sel:WORD_1 src1_sel:DWORD
	v_sub_f16_e32 v29, v27, v28
	v_fma_f16 v1, v4, v26, -v1
	v_fma_f16 v31, v5, v16, v31
	v_fma_f16 v32, v22, v35, v32
	v_mul_f16_sdwa v35, v22, v35 dst_sel:DWORD dst_unused:UNUSED_PAD src0_sel:WORD_1 src1_sel:DWORD
	v_mul_f16_sdwa v16, v5, v16 dst_sel:DWORD dst_unused:UNUSED_PAD src0_sel:WORD_1 src1_sel:DWORD
	v_mul_f16_e32 v30, 0xbbeb, v29
	v_add_f16_e32 v4, v23, v1
	s_mov_b32 s0, 0xb08e
	v_sub_f16_e32 v33, v31, v32
	v_fma_f16 v22, v22, v60, -v35
	v_fma_f16 v5, v5, v24, -v16
	v_fma_f16 v26, v4, s0, v30
	v_mul_f16_e32 v38, 0x3482, v33
	v_add_f16_e32 v16, v22, v5
	s_mov_b32 s4, 0xbbad
	v_add_f16_e32 v26, v14, v26
	v_fma_f16 v24, v16, s4, v38
	v_add_f16_e32 v24, v24, v26
	v_mul_f16_sdwa v26, v6, v21 dst_sel:DWORD dst_unused:UNUSED_PAD src0_sel:WORD_1 src1_sel:DWORD
	v_mul_f16_sdwa v35, v11, v58 dst_sel:DWORD dst_unused:UNUSED_PAD src0_sel:WORD_1 src1_sel:DWORD
	v_fma_f16 v26, v6, v17, v26
	v_fma_f16 v35, v11, v34, v35
	v_mul_f16_sdwa v34, v11, v34 dst_sel:DWORD dst_unused:UNUSED_PAD src0_sel:WORD_1 src1_sel:DWORD
	v_mul_f16_sdwa v17, v6, v17 dst_sel:DWORD dst_unused:UNUSED_PAD src0_sel:WORD_1 src1_sel:DWORD
	v_sub_f16_e32 v39, v26, v35
	v_fma_f16 v11, v11, v58, -v34
	v_fma_f16 v6, v6, v21, -v17
	v_mul_f16_e32 v40, 0x3b47, v39
	v_add_f16_e32 v17, v11, v6
	s_movk_i32 s5, 0x36a6
	v_fma_f16 v21, v17, s5, v40
	v_add_f16_e32 v21, v21, v24
	v_mul_f16_sdwa v24, v7, v18 dst_sel:DWORD dst_unused:UNUSED_PAD src0_sel:WORD_1 src1_sel:DWORD
	v_mul_f16_sdwa v34, v10, v25 dst_sel:DWORD dst_unused:UNUSED_PAD src0_sel:WORD_1 src1_sel:DWORD
	v_fma_f16 v24, v7, v2, v24
	v_fma_f16 v34, v10, v13, v34
	v_mul_f16_sdwa v13, v10, v13 dst_sel:DWORD dst_unused:UNUSED_PAD src0_sel:WORD_1 src1_sel:DWORD
	v_mul_f16_sdwa v2, v7, v2 dst_sel:DWORD dst_unused:UNUSED_PAD src0_sel:WORD_1 src1_sel:DWORD
	v_sub_f16_e32 v41, v24, v34
	v_fma_f16 v10, v10, v25, -v13
	v_fma_f16 v2, v7, v18, -v2
	v_mul_f16_e32 v42, 0xb853, v41
	v_add_f16_e32 v7, v10, v2
	s_movk_i32 s15, 0x3abb
	v_fma_f16 v13, v7, s15, v42
	v_add_f16_e32 v13, v13, v21
	v_mul_f16_sdwa v18, v8, v19 dst_sel:DWORD dst_unused:UNUSED_PAD src0_sel:WORD_1 src1_sel:DWORD
	v_mul_f16_sdwa v21, v9, v20 dst_sel:DWORD dst_unused:UNUSED_PAD src0_sel:WORD_1 src1_sel:DWORD
	v_fma_f16 v18, v8, v3, v18
	v_fma_f16 v21, v9, v12, v21
	v_mul_f16_sdwa v12, v9, v12 dst_sel:DWORD dst_unused:UNUSED_PAD src0_sel:WORD_1 src1_sel:DWORD
	v_mul_f16_sdwa v3, v8, v3 dst_sel:DWORD dst_unused:UNUSED_PAD src0_sel:WORD_1 src1_sel:DWORD
	v_sub_f16_e32 v25, v18, v21
	v_fma_f16 v9, v9, v20, -v12
	v_fma_f16 v3, v8, v19, -v3
	v_mul_f16_e32 v43, 0xba0c, v25
	v_add_f16_e32 v8, v9, v3
	s_mov_b32 s17, 0xb93d
	v_fma_f16 v12, v8, s17, v43
	v_sub_f16_e32 v19, v1, v23
	v_add_f16_e32 v12, v12, v13
	v_add_f16_e32 v13, v28, v27
	v_mul_f16_e32 v20, 0xbbeb, v19
	v_sub_f16_e32 v46, v5, v22
	v_fma_f16 v44, v13, s0, -v20
	v_add_f16_e32 v45, v32, v31
	v_mul_f16_e32 v47, 0x3482, v46
	v_add_f16_e32 v44, v0, v44
	v_fma_f16 v48, v45, s4, -v47
	v_sub_f16_e32 v49, v6, v11
	v_add_f16_e32 v44, v48, v44
	v_add_f16_e32 v48, v35, v26
	v_mul_f16_e32 v50, 0x3b47, v49
	v_fma_f16 v51, v48, s5, -v50
	v_sub_f16_e32 v52, v2, v10
	v_add_f16_e32 v44, v51, v44
	v_add_f16_e32 v51, v34, v24
	v_mul_f16_e32 v53, 0xb853, v52
	;; [unrolled: 5-line block ×3, first 2 shown]
	v_fma_f16 v57, v54, s17, -v56
	v_fma_f16 v30, v4, s0, -v30
	v_add_f16_e32 v44, v57, v44
	v_mul_f16_e32 v57, 0xba0c, v29
	v_add_f16_e32 v30, v14, v30
	v_fma_f16 v38, v16, s4, -v38
	v_fma_f16 v58, v4, s17, v57
	v_mul_f16_e32 v59, 0x3beb, v33
	v_add_f16_e32 v30, v38, v30
	v_fma_f16 v38, v17, s5, -v40
	v_add_f16_e32 v58, v14, v58
	v_fma_f16 v60, v16, s0, v59
	v_add_f16_e32 v30, v38, v30
	v_fma_f16 v38, v7, s15, -v42
	v_add_f16_e32 v58, v60, v58
	v_mul_f16_e32 v60, 0xb853, v39
	v_add_f16_e32 v30, v38, v30
	v_fma_f16 v38, v8, s17, -v43
	v_fma_f16 v20, v13, s0, v20
	v_fma_f16 v61, v17, s15, v60
	v_add_f16_e32 v30, v38, v30
	v_add_f16_e32 v20, v0, v20
	v_fma_f16 v38, v45, s4, v47
	v_add_f16_e32 v58, v61, v58
	v_mul_f16_e32 v61, 0xb482, v41
	v_add_f16_e32 v20, v38, v20
	v_fma_f16 v38, v48, s5, v50
	v_fma_f16 v62, v7, s4, v61
	v_add_f16_e32 v20, v38, v20
	v_fma_f16 v38, v51, s15, v53
	v_add_f16_e32 v58, v62, v58
	v_mul_f16_e32 v62, 0x3b47, v25
	v_add_f16_e32 v20, v38, v20
	v_fma_f16 v38, v54, s17, v56
	s_movk_i32 s19, 0x3b47
	v_fma_f16 v63, v8, s5, v62
	v_fma_f16 v57, v4, s17, -v57
	v_add_f16_e32 v20, v38, v20
	v_mul_f16_e32 v38, 0x36a6, v4
	v_add_f16_e32 v58, v63, v58
	v_mul_f16_e32 v63, 0xba0c, v19
	v_add_f16_e32 v57, v14, v57
	v_fma_f16 v59, v16, s0, -v59
	v_fma_f16 v40, v29, s19, v38
	v_mul_f16_e32 v42, 0xb93d, v16
	s_movk_i32 s23, 0x3a0c
	v_fma_f16 v64, v13, s17, -v63
	v_mul_f16_e32 v65, 0x3beb, v46
	v_add_f16_e32 v57, v59, v57
	v_fma_f16 v59, v17, s15, -v60
	v_add_f16_e32 v40, v14, v40
	v_fma_f16 v43, v33, s23, v42
	s_mov_b32 s20, 0xb482
	v_add_f16_e32 v64, v0, v64
	v_fma_f16 v66, v45, s0, -v65
	v_add_f16_e32 v57, v59, v57
	v_fma_f16 v59, v7, s4, -v61
	v_add_f16_e32 v40, v43, v40
	v_mul_f16_e32 v43, 0xbbad, v17
	v_add_f16_e32 v64, v66, v64
	v_mul_f16_e32 v66, 0xb853, v49
	v_add_f16_e32 v57, v59, v57
	v_fma_f16 v59, v8, s5, -v62
	v_fma_f16 v47, v39, s20, v43
	s_mov_b32 s1, 0xbbeb
	v_fma_f16 v67, v48, s15, -v66
	v_add_f16_e32 v57, v59, v57
	v_fma_f16 v59, v13, s17, v63
	v_add_f16_e32 v40, v47, v40
	v_mul_f16_e32 v47, 0xb08e, v7
	v_add_f16_e32 v64, v67, v64
	v_mul_f16_e32 v67, 0xb482, v52
	v_add_f16_e32 v59, v0, v59
	v_fma_f16 v60, v45, s0, v65
	v_fma_f16 v50, v41, s1, v47
	s_mov_b32 s16, 0xb853
	v_fma_f16 v68, v51, s4, -v67
	v_add_f16_e32 v59, v60, v59
	v_fma_f16 v60, v48, s15, v66
	v_add_f16_e32 v40, v50, v40
	v_mul_f16_e32 v50, 0x3abb, v8
	v_add_f16_e32 v1, v1, v14
	v_add_f16_e32 v64, v68, v64
	v_mul_f16_e32 v68, 0x3b47, v55
	v_add_f16_e32 v59, v60, v59
	v_fma_f16 v60, v51, s4, v67
	v_fma_f16 v53, v25, s16, v50
	v_add_f16_e32 v1, v5, v1
	v_fma_f16 v69, v54, s5, -v68
	v_add_f16_e32 v59, v60, v59
	v_fma_f16 v60, v54, s5, v68
	v_add_f16_e32 v40, v53, v40
	s_mov_b32 s24, 0xbb47
	v_mul_f16_e32 v53, 0xbb47, v19
	v_add_f16_e32 v1, v6, v1
	s_mov_b32 s18, 0xba0c
	v_add_f16_e32 v64, v69, v64
	v_mul_f16_e32 v69, 0xb482, v29
	v_add_f16_e32 v59, v60, v59
	v_fma_f16 v56, v13, s5, v53
	v_mul_f16_e32 v60, 0xba0c, v46
	v_add_f16_e32 v1, v2, v1
	v_fma_f16 v2, v29, s24, v38
	s_movk_i32 s14, 0x3482
	v_fma_f16 v70, v4, s4, v69
	v_mul_f16_e32 v71, 0x3853, v33
	v_add_f16_e32 v56, v0, v56
	v_fma_f16 v61, v45, s17, v60
	v_add_f16_e32 v1, v3, v1
	v_add_f16_e32 v2, v14, v2
	v_fma_f16 v3, v33, s18, v42
	s_movk_i32 s21, 0x3beb
	v_add_f16_e32 v70, v14, v70
	v_fma_f16 v72, v16, s15, v71
	v_add_f16_e32 v56, v61, v56
	v_mul_f16_e32 v61, 0x3482, v49
	v_add_f16_e32 v2, v3, v2
	v_fma_f16 v3, v39, s14, v43
	s_movk_i32 s22, 0x3853
	v_add_f16_e32 v70, v72, v70
	v_mul_f16_e32 v72, 0xba0c, v39
	v_fma_f16 v62, v48, s4, v61
	v_add_f16_e32 v2, v3, v2
	v_fma_f16 v3, v41, s21, v47
	v_fma_f16 v73, v17, s17, v72
	v_add_f16_e32 v56, v62, v56
	v_mul_f16_e32 v62, 0x3beb, v52
	v_add_f16_e32 v2, v3, v2
	v_fma_f16 v3, v25, s22, v50
	v_add_f16_e32 v70, v73, v70
	v_mul_f16_e32 v73, 0x3b47, v41
	v_fma_f16 v63, v51, s0, v62
	v_add_f16_e32 v2, v3, v2
	v_fma_f16 v3, v13, s5, -v53
	v_fma_f16 v74, v7, s5, v73
	v_add_f16_e32 v56, v63, v56
	v_mul_f16_e32 v63, 0x3853, v55
	v_add_f16_e32 v3, v0, v3
	v_fma_f16 v5, v45, s17, -v60
	v_add_f16_e32 v70, v74, v70
	v_mul_f16_e32 v74, 0xbbeb, v25
	v_fma_f16 v69, v4, s4, -v69
	v_fma_f16 v65, v54, s15, v63
	v_mul_f16_e32 v4, 0x3abb, v4
	v_add_f16_e32 v3, v5, v3
	v_fma_f16 v5, v48, s4, -v61
	v_fma_f16 v75, v8, s0, v74
	v_add_f16_e32 v69, v14, v69
	v_fma_f16 v71, v16, s15, -v71
	v_add_f16_e32 v56, v65, v56
	v_fma_f16 v65, v29, s22, v4
	v_mul_f16_e32 v16, 0x36a6, v16
	v_add_f16_e32 v3, v5, v3
	v_fma_f16 v5, v51, s0, -v62
	v_add_f16_e32 v70, v75, v70
	v_mul_f16_e32 v75, 0xb482, v19
	v_add_f16_e32 v69, v71, v69
	v_fma_f16 v71, v17, s17, -v72
	v_add_f16_e32 v65, v14, v65
	v_fma_f16 v66, v33, s19, v16
	v_mul_f16_e32 v17, 0xb08e, v17
	v_add_f16_e32 v27, v0, v27
	v_add_f16_e32 v3, v5, v3
	v_fma_f16 v5, v54, s15, -v63
	v_fma_f16 v4, v29, s16, v4
	v_fma_f16 v76, v13, s4, -v75
	v_mul_f16_e32 v77, 0x3853, v46
	v_add_f16_e32 v69, v71, v69
	v_fma_f16 v71, v7, s5, -v73
	v_add_f16_e32 v65, v66, v65
	v_fma_f16 v66, v39, s21, v17
	v_mul_f16_e32 v7, 0xb93d, v7
	v_add_f16_e32 v27, v31, v27
	v_add_f16_e32 v3, v5, v3
	;; [unrolled: 1-line block ×3, first 2 shown]
	v_fma_f16 v5, v33, s24, v16
	v_add_f16_e32 v76, v0, v76
	v_fma_f16 v78, v45, s15, -v77
	v_add_f16_e32 v69, v71, v69
	v_fma_f16 v71, v8, s0, -v74
	v_add_f16_e32 v65, v66, v65
	v_fma_f16 v66, v41, s23, v7
	v_mul_f16_e32 v8, 0xbbad, v8
	v_add_f16_e32 v26, v26, v27
	v_add_f16_e32 v4, v5, v4
	v_fma_f16 v5, v39, s1, v17
	v_add_f16_e32 v76, v78, v76
	v_mul_f16_e32 v78, 0xba0c, v49
	v_add_f16_e32 v65, v66, v65
	v_fma_f16 v66, v25, s14, v8
	v_mul_f16_e32 v19, 0xb853, v19
	v_add_f16_e32 v24, v24, v26
	v_add_f16_e32 v4, v5, v4
	v_fma_f16 v5, v41, s18, v7
	v_fma_f16 v79, v48, s17, -v78
	v_add_f16_e32 v65, v66, v65
	v_fma_f16 v66, v13, s15, v19
	v_mul_f16_e32 v46, 0xbb47, v46
	v_add_f16_e32 v18, v18, v24
	v_add_f16_e32 v4, v5, v4
	v_fma_f16 v5, v25, s20, v8
	v_add_f16_e32 v76, v79, v76
	v_mul_f16_e32 v79, 0x3b47, v52
	v_add_f16_e32 v69, v71, v69
	v_fma_f16 v71, v13, s4, v75
	v_add_f16_e32 v66, v0, v66
	v_fma_f16 v67, v45, s5, v46
	v_mul_f16_e32 v49, 0xbbeb, v49
	v_add_f16_e32 v18, v21, v18
	v_add_f16_e32 v1, v9, v1
	;; [unrolled: 1-line block ×3, first 2 shown]
	v_fma_f16 v5, v13, s15, -v19
	v_fma_f16 v80, v51, s5, -v79
	v_add_f16_e32 v71, v0, v71
	v_add_f16_e32 v66, v67, v66
	v_fma_f16 v67, v48, s0, v49
	v_mul_f16_e32 v52, 0xba0c, v52
	v_add_f16_e32 v18, v34, v18
	v_add_f16_e32 v1, v10, v1
	;; [unrolled: 1-line block ×3, first 2 shown]
	v_fma_f16 v5, v45, s5, -v46
	v_add_f16_e32 v76, v80, v76
	v_mul_f16_e32 v80, 0xbbeb, v55
	v_fma_f16 v72, v45, s15, v77
	v_add_f16_e32 v66, v67, v66
	v_fma_f16 v67, v51, s17, v52
	v_mul_f16_e32 v55, 0xb482, v55
	v_add_f16_e32 v18, v35, v18
	v_add_f16_e32 v1, v11, v1
	;; [unrolled: 1-line block ×3, first 2 shown]
	v_fma_f16 v5, v48, s0, -v49
	v_add_f16_e32 v71, v72, v71
	v_fma_f16 v72, v48, s17, v78
	v_add_f16_e32 v66, v67, v66
	v_fma_f16 v67, v54, s4, v55
	v_add_f16_e32 v18, v32, v18
	v_add_f16_e32 v1, v22, v1
	;; [unrolled: 1-line block ×3, first 2 shown]
	v_fma_f16 v5, v51, s17, -v52
	v_add_f16_e32 v71, v72, v71
	v_fma_f16 v72, v51, s5, v79
	v_add_f16_e32 v66, v67, v66
	v_add_f16_e32 v18, v28, v18
	;; [unrolled: 1-line block ×4, first 2 shown]
	v_fma_f16 v5, v54, s4, -v55
	v_add_f16_e32 v71, v72, v71
	v_fma_f16 v72, v54, s0, v80
	v_add_f16_e32 v0, v5, v0
	v_pack_b32_f16 v1, v18, v1
	v_pack_b32_f16 v5, v66, v65
	v_fma_f16 v81, v54, s0, -v80
	v_add_f16_e32 v71, v72, v71
	ds_write2_b32 v37, v1, v5 offset1:136
	v_pack_b32_f16 v1, v56, v40
	v_pack_b32_f16 v5, v20, v30
	v_add_u32_e32 v6, 0x400, v37
	v_add_f16_e32 v76, v81, v76
	ds_write2_b32 v6, v1, v5 offset0:16 offset1:152
	v_pack_b32_f16 v1, v59, v57
	v_pack_b32_f16 v5, v71, v69
	v_add_u32_e32 v6, 0x800, v37
	ds_write2_b32 v6, v1, v5 offset0:32 offset1:168
	v_pack_b32_f16 v1, v76, v70
	v_pack_b32_f16 v5, v64, v58
	v_add_u32_e32 v6, 0xc00, v37
	;; [unrolled: 4-line block ×3, first 2 shown]
	v_pack_b32_f16 v0, v0, v4
	ds_write2_b32 v3, v1, v2 offset0:64 offset1:200
	ds_write_b32 v37, v0 offset:5440
.LBB0_21:
	s_or_b64 exec, exec, s[2:3]
	s_waitcnt lgkmcnt(0)
	s_barrier
	s_and_b64 exec, exec, vcc
	s_cbranch_execz .LBB0_23
; %bb.22:
	global_load_dword v8, v37, s[6:7]
	ds_read_b32 v9, v37
	v_mad_u64_u32 v[0:1], s[0:1], s10, v15, 0
	v_mov_b32_e32 v2, 0x7c00
	v_mad_u64_u32 v[3:4], s[0:1], s8, v36, 0
	v_mad_u64_u32 v[5:6], s[0:1], s11, v15, v[1:2]
	s_mov_b32 s14, 0xb8d015e7
	s_mov_b32 s15, 0x3f45e75b
	v_mad_u64_u32 v[6:7], s[0:1], s9, v36, v[4:5]
	s_waitcnt lgkmcnt(0)
	v_lshrrev_b32_e32 v7, 16, v9
	v_mov_b32_e32 v1, v5
	v_mov_b32_e32 v4, v6
	v_lshlrev_b64 v[0:1], 2, v[0:1]
	v_mov_b32_e32 v11, s13
	s_movk_i32 s16, 0x1ff
	s_movk_i32 s10, 0xffe
	;; [unrolled: 1-line block ×3, first 2 shown]
	s_mov_b32 s17, 0x8000
	s_mul_i32 s11, s8, 0x160
	s_waitcnt vmcnt(0)
	v_mul_f16_sdwa v5, v7, v8 dst_sel:DWORD dst_unused:UNUSED_PAD src0_sel:DWORD src1_sel:WORD_1
	v_fma_f16 v5, v9, v8, v5
	v_mul_f16_sdwa v6, v9, v8 dst_sel:DWORD dst_unused:UNUSED_PAD src0_sel:DWORD src1_sel:WORD_1
	v_cvt_f32_f16_e32 v5, v5
	v_fma_f16 v6, v8, v7, -v6
	v_cvt_f32_f16_e32 v9, v6
	v_lshlrev_b64 v[7:8], 2, v[3:4]
	v_cvt_f64_f32_e32 v[5:6], v5
	v_add_co_u32_e32 v3, vcc, s12, v0
	v_cvt_f64_f32_e32 v[9:10], v9
	v_mul_f64 v[5:6], v[5:6], s[14:15]
	v_addc_co_u32_e32 v4, vcc, v11, v1, vcc
	v_mul_f64 v[0:1], v[9:10], s[14:15]
	v_add_co_u32_e32 v7, vcc, v3, v7
	v_addc_co_u32_e32 v8, vcc, v4, v8, vcc
	v_and_or_b32 v5, v6, s16, v5
	v_cmp_ne_u32_e32 vcc, 0, v5
	v_lshrrev_b32_e32 v9, 8, v6
	v_and_or_b32 v0, v1, s16, v0
	v_bfe_u32 v10, v6, 20, 11
	v_cndmask_b32_e64 v5, 0, 1, vcc
	v_cmp_ne_u32_e32 vcc, 0, v0
	v_lshrrev_b32_e32 v11, 8, v1
	v_bfe_u32 v12, v1, 20, 11
	v_sub_u32_e32 v13, 0x3f1, v10
	v_cndmask_b32_e64 v0, 0, 1, vcc
	v_and_or_b32 v5, v9, s10, v5
	v_sub_u32_e32 v14, 0x3f1, v12
	v_med3_i32 v9, v13, 0, 13
	v_and_or_b32 v0, v11, s10, v0
	v_or_b32_e32 v13, 0x1000, v5
	v_add_u32_e32 v10, 0xfffffc10, v10
	v_med3_i32 v11, v14, 0, 13
	v_cmp_ne_u32_e32 vcc, 0, v5
	v_or_b32_e32 v15, 0x1000, v0
	v_lshrrev_b32_e32 v17, v9, v13
	v_add_u32_e32 v12, 0xfffffc10, v12
	v_lshl_or_b32 v14, v10, 12, v5
	v_cndmask_b32_e64 v5, 0, 1, vcc
	v_cmp_ne_u32_e32 vcc, 0, v0
	v_lshrrev_b32_e32 v18, v11, v15
	v_lshlrev_b32_e32 v9, v9, v17
	v_lshl_or_b32 v16, v12, 12, v0
	v_cndmask_b32_e64 v0, 0, 1, vcc
	v_lshlrev_b32_e32 v11, v11, v18
	v_cmp_ne_u32_e32 vcc, v9, v13
	v_cndmask_b32_e64 v9, 0, 1, vcc
	v_cmp_ne_u32_e32 vcc, v11, v15
	v_cndmask_b32_e64 v11, 0, 1, vcc
	v_or_b32_e32 v9, v17, v9
	v_cmp_gt_i32_e32 vcc, 1, v10
	v_cndmask_b32_e32 v9, v14, v9, vcc
	v_or_b32_e32 v11, v18, v11
	v_cmp_gt_i32_e32 vcc, 1, v12
	v_and_b32_e32 v13, 7, v9
	v_cndmask_b32_e32 v11, v16, v11, vcc
	v_cmp_lt_i32_e32 vcc, 5, v13
	v_cmp_eq_u32_e64 s[0:1], 3, v13
	v_lshrrev_b32_e32 v9, 2, v9
	v_and_b32_e32 v14, 7, v11
	s_or_b64 vcc, s[0:1], vcc
	v_cmp_lt_i32_e64 s[2:3], 5, v14
	v_cmp_eq_u32_e64 s[4:5], 3, v14
	v_addc_co_u32_e32 v9, vcc, 0, v9, vcc
	v_lshrrev_b32_e32 v11, 2, v11
	s_or_b64 vcc, s[4:5], s[2:3]
	v_addc_co_u32_e32 v11, vcc, 0, v11, vcc
	v_cmp_gt_i32_e32 vcc, 31, v10
	v_cndmask_b32_e32 v9, v2, v9, vcc
	v_cmp_gt_i32_e32 vcc, 31, v12
	v_lshl_or_b32 v5, v5, 9, v2
	v_cndmask_b32_e32 v11, v2, v11, vcc
	v_cmp_eq_u32_e32 vcc, s18, v10
	v_lshrrev_b32_e32 v6, 16, v6
	v_lshl_or_b32 v0, v0, 9, v2
	v_cndmask_b32_e32 v5, v9, v5, vcc
	v_cmp_eq_u32_e32 vcc, s18, v12
	v_lshrrev_b32_e32 v1, 16, v1
	v_cndmask_b32_e32 v0, v11, v0, vcc
	v_and_or_b32 v5, v6, s17, v5
	v_and_or_b32 v0, v1, s17, v0
	v_and_b32_e32 v1, 0xffff, v5
	v_lshl_or_b32 v0, v0, 16, v1
	global_store_dword v[7:8], v0, off
	global_load_dword v5, v37, s[6:7] offset:352
	ds_read2_b32 v[0:1], v37 offset0:88 offset1:176
	s_mul_i32 s0, s9, 0x160
	s_mul_hi_u32 s12, s8, 0x160
	s_add_i32 s12, s12, s0
	v_add_co_u32_e32 v7, vcc, s11, v7
	s_waitcnt lgkmcnt(0)
	v_lshrrev_b32_e32 v6, 16, v0
	s_waitcnt vmcnt(0)
	v_mul_f16_sdwa v9, v6, v5 dst_sel:DWORD dst_unused:UNUSED_PAD src0_sel:DWORD src1_sel:WORD_1
	v_fma_f16 v9, v0, v5, v9
	v_mul_f16_sdwa v0, v0, v5 dst_sel:DWORD dst_unused:UNUSED_PAD src0_sel:DWORD src1_sel:WORD_1
	v_cvt_f32_f16_e32 v9, v9
	v_fma_f16 v0, v5, v6, -v0
	v_cvt_f32_f16_e32 v0, v0
	v_cvt_f64_f32_e32 v[5:6], v9
	v_cvt_f64_f32_e32 v[9:10], v0
	v_mov_b32_e32 v0, s12
	v_mul_f64 v[5:6], v[5:6], s[14:15]
	v_addc_co_u32_e32 v8, vcc, v8, v0, vcc
	v_mul_f64 v[9:10], v[9:10], s[14:15]
	v_and_or_b32 v0, v6, s16, v5
	v_cmp_ne_u32_e32 vcc, 0, v0
	v_lshrrev_b32_e32 v5, 8, v6
	v_and_or_b32 v9, v10, s16, v9
	v_bfe_u32 v11, v6, 20, 11
	v_cndmask_b32_e64 v0, 0, 1, vcc
	v_cmp_ne_u32_e32 vcc, 0, v9
	v_lshrrev_b32_e32 v12, 8, v10
	v_bfe_u32 v13, v10, 20, 11
	v_sub_u32_e32 v14, 0x3f1, v11
	v_cndmask_b32_e64 v9, 0, 1, vcc
	v_and_or_b32 v0, v5, s10, v0
	v_sub_u32_e32 v15, 0x3f1, v13
	v_med3_i32 v5, v14, 0, 13
	v_and_or_b32 v9, v12, s10, v9
	v_or_b32_e32 v14, 0x1000, v0
	v_add_u32_e32 v11, 0xfffffc10, v11
	v_med3_i32 v12, v15, 0, 13
	v_cmp_ne_u32_e32 vcc, 0, v0
	v_or_b32_e32 v16, 0x1000, v9
	v_lshrrev_b32_e32 v18, v5, v14
	v_add_u32_e32 v13, 0xfffffc10, v13
	v_lshl_or_b32 v15, v11, 12, v0
	v_cndmask_b32_e64 v0, 0, 1, vcc
	v_cmp_ne_u32_e32 vcc, 0, v9
	v_lshrrev_b32_e32 v19, v12, v16
	v_lshlrev_b32_e32 v5, v5, v18
	v_lshl_or_b32 v17, v13, 12, v9
	v_cndmask_b32_e64 v9, 0, 1, vcc
	v_lshlrev_b32_e32 v12, v12, v19
	v_cmp_ne_u32_e32 vcc, v5, v14
	v_cndmask_b32_e64 v5, 0, 1, vcc
	v_cmp_ne_u32_e32 vcc, v12, v16
	v_cndmask_b32_e64 v12, 0, 1, vcc
	v_or_b32_e32 v5, v18, v5
	v_cmp_gt_i32_e32 vcc, 1, v11
	v_cndmask_b32_e32 v5, v15, v5, vcc
	v_or_b32_e32 v12, v19, v12
	v_cmp_gt_i32_e32 vcc, 1, v13
	v_and_b32_e32 v14, 7, v5
	v_cndmask_b32_e32 v12, v17, v12, vcc
	v_cmp_lt_i32_e32 vcc, 5, v14
	v_cmp_eq_u32_e64 s[0:1], 3, v14
	v_lshrrev_b32_e32 v5, 2, v5
	v_and_b32_e32 v15, 7, v12
	s_or_b64 vcc, s[0:1], vcc
	v_cmp_lt_i32_e64 s[2:3], 5, v15
	v_cmp_eq_u32_e64 s[4:5], 3, v15
	v_addc_co_u32_e32 v5, vcc, 0, v5, vcc
	v_lshrrev_b32_e32 v12, 2, v12
	s_or_b64 vcc, s[4:5], s[2:3]
	v_addc_co_u32_e32 v12, vcc, 0, v12, vcc
	v_cmp_gt_i32_e32 vcc, 31, v11
	v_cndmask_b32_e32 v5, v2, v5, vcc
	v_cmp_gt_i32_e32 vcc, 31, v13
	v_lshl_or_b32 v0, v0, 9, v2
	v_cndmask_b32_e32 v12, v2, v12, vcc
	v_cmp_eq_u32_e32 vcc, s18, v11
	v_lshrrev_b32_e32 v6, 16, v6
	v_lshl_or_b32 v9, v9, 9, v2
	v_cndmask_b32_e32 v0, v5, v0, vcc
	v_cmp_eq_u32_e32 vcc, s18, v13
	v_lshrrev_b32_e32 v10, 16, v10
	v_cndmask_b32_e32 v5, v12, v9, vcc
	v_and_or_b32 v0, v6, s17, v0
	v_and_or_b32 v5, v10, s17, v5
	v_and_b32_e32 v0, 0xffff, v0
	v_lshl_or_b32 v0, v5, 16, v0
	global_store_dword v[7:8], v0, off
	global_load_dword v0, v37, s[6:7] offset:704
	v_lshrrev_b32_e32 v5, 16, v1
	v_mov_b32_e32 v9, s12
	v_add_co_u32_e32 v7, vcc, s11, v7
	v_addc_co_u32_e32 v8, vcc, v8, v9, vcc
	s_waitcnt vmcnt(0)
	v_mul_f16_sdwa v6, v5, v0 dst_sel:DWORD dst_unused:UNUSED_PAD src0_sel:DWORD src1_sel:WORD_1
	v_fma_f16 v6, v1, v0, v6
	v_mul_f16_sdwa v1, v1, v0 dst_sel:DWORD dst_unused:UNUSED_PAD src0_sel:DWORD src1_sel:WORD_1
	v_cvt_f32_f16_e32 v6, v6
	v_fma_f16 v0, v0, v5, -v1
	v_cvt_f32_f16_e32 v5, v0
	v_cvt_f64_f32_e32 v[0:1], v6
	v_cvt_f64_f32_e32 v[5:6], v5
	v_mul_f64 v[0:1], v[0:1], s[14:15]
	v_mul_f64 v[5:6], v[5:6], s[14:15]
	v_and_or_b32 v0, v1, s16, v0
	v_cmp_ne_u32_e32 vcc, 0, v0
	v_and_or_b32 v5, v6, s16, v5
	v_lshrrev_b32_e32 v9, 8, v1
	v_bfe_u32 v10, v1, 20, 11
	v_cndmask_b32_e64 v0, 0, 1, vcc
	v_cmp_ne_u32_e32 vcc, 0, v5
	v_lshrrev_b32_e32 v11, 8, v6
	v_bfe_u32 v12, v6, 20, 11
	v_sub_u32_e32 v13, 0x3f1, v10
	v_cndmask_b32_e64 v5, 0, 1, vcc
	v_and_or_b32 v0, v9, s10, v0
	v_sub_u32_e32 v14, 0x3f1, v12
	v_med3_i32 v9, v13, 0, 13
	v_and_or_b32 v5, v11, s10, v5
	v_or_b32_e32 v13, 0x1000, v0
	v_add_u32_e32 v10, 0xfffffc10, v10
	v_med3_i32 v11, v14, 0, 13
	v_cmp_ne_u32_e32 vcc, 0, v0
	v_or_b32_e32 v15, 0x1000, v5
	v_lshrrev_b32_e32 v17, v9, v13
	v_add_u32_e32 v12, 0xfffffc10, v12
	v_lshl_or_b32 v14, v10, 12, v0
	v_cndmask_b32_e64 v0, 0, 1, vcc
	v_cmp_ne_u32_e32 vcc, 0, v5
	v_lshrrev_b32_e32 v18, v11, v15
	v_lshlrev_b32_e32 v9, v9, v17
	v_lshl_or_b32 v16, v12, 12, v5
	v_cndmask_b32_e64 v5, 0, 1, vcc
	v_lshlrev_b32_e32 v11, v11, v18
	v_cmp_ne_u32_e32 vcc, v9, v13
	v_cndmask_b32_e64 v9, 0, 1, vcc
	v_cmp_ne_u32_e32 vcc, v11, v15
	v_cndmask_b32_e64 v11, 0, 1, vcc
	v_or_b32_e32 v9, v17, v9
	v_cmp_gt_i32_e32 vcc, 1, v10
	v_cndmask_b32_e32 v9, v14, v9, vcc
	v_or_b32_e32 v11, v18, v11
	v_cmp_gt_i32_e32 vcc, 1, v12
	v_and_b32_e32 v13, 7, v9
	v_cndmask_b32_e32 v11, v16, v11, vcc
	v_cmp_lt_i32_e32 vcc, 5, v13
	v_cmp_eq_u32_e64 s[0:1], 3, v13
	v_lshrrev_b32_e32 v9, 2, v9
	v_and_b32_e32 v14, 7, v11
	s_or_b64 vcc, s[0:1], vcc
	v_cmp_lt_i32_e64 s[2:3], 5, v14
	v_cmp_eq_u32_e64 s[4:5], 3, v14
	v_addc_co_u32_e32 v9, vcc, 0, v9, vcc
	v_lshrrev_b32_e32 v11, 2, v11
	s_or_b64 vcc, s[4:5], s[2:3]
	v_addc_co_u32_e32 v11, vcc, 0, v11, vcc
	v_cmp_gt_i32_e32 vcc, 31, v10
	v_cndmask_b32_e32 v9, v2, v9, vcc
	v_cmp_gt_i32_e32 vcc, 31, v12
	v_lshl_or_b32 v0, v0, 9, v2
	v_cndmask_b32_e32 v11, v2, v11, vcc
	v_cmp_eq_u32_e32 vcc, s18, v10
	v_lshrrev_b32_e32 v1, 16, v1
	v_lshl_or_b32 v5, v5, 9, v2
	v_cndmask_b32_e32 v0, v9, v0, vcc
	v_cmp_eq_u32_e32 vcc, s18, v12
	v_lshrrev_b32_e32 v6, 16, v6
	v_cndmask_b32_e32 v5, v11, v5, vcc
	v_and_or_b32 v0, v1, s17, v0
	v_and_or_b32 v1, v6, s17, v5
	v_and_b32_e32 v0, 0xffff, v0
	v_lshl_or_b32 v0, v1, 16, v0
	global_store_dword v[7:8], v0, off
	global_load_dword v5, v37, s[6:7] offset:1056
	v_add_u32_e32 v0, 0x400, v37
	ds_read2_b32 v[0:1], v0 offset0:8 offset1:96
	v_add_co_u32_e32 v7, vcc, s11, v7
	s_waitcnt lgkmcnt(0)
	v_lshrrev_b32_e32 v6, 16, v0
	s_waitcnt vmcnt(0)
	v_mul_f16_sdwa v9, v6, v5 dst_sel:DWORD dst_unused:UNUSED_PAD src0_sel:DWORD src1_sel:WORD_1
	v_fma_f16 v9, v0, v5, v9
	v_mul_f16_sdwa v0, v0, v5 dst_sel:DWORD dst_unused:UNUSED_PAD src0_sel:DWORD src1_sel:WORD_1
	v_cvt_f32_f16_e32 v9, v9
	v_fma_f16 v0, v5, v6, -v0
	v_cvt_f32_f16_e32 v0, v0
	v_cvt_f64_f32_e32 v[5:6], v9
	v_cvt_f64_f32_e32 v[9:10], v0
	v_mov_b32_e32 v0, s12
	v_mul_f64 v[5:6], v[5:6], s[14:15]
	v_addc_co_u32_e32 v8, vcc, v8, v0, vcc
	v_mul_f64 v[9:10], v[9:10], s[14:15]
	v_and_or_b32 v0, v6, s16, v5
	v_cmp_ne_u32_e32 vcc, 0, v0
	v_lshrrev_b32_e32 v5, 8, v6
	v_and_or_b32 v9, v10, s16, v9
	v_bfe_u32 v11, v6, 20, 11
	v_cndmask_b32_e64 v0, 0, 1, vcc
	v_cmp_ne_u32_e32 vcc, 0, v9
	v_lshrrev_b32_e32 v12, 8, v10
	v_bfe_u32 v13, v10, 20, 11
	v_sub_u32_e32 v14, 0x3f1, v11
	v_cndmask_b32_e64 v9, 0, 1, vcc
	v_and_or_b32 v0, v5, s10, v0
	v_sub_u32_e32 v15, 0x3f1, v13
	v_med3_i32 v5, v14, 0, 13
	v_and_or_b32 v9, v12, s10, v9
	v_or_b32_e32 v14, 0x1000, v0
	v_add_u32_e32 v11, 0xfffffc10, v11
	v_med3_i32 v12, v15, 0, 13
	v_cmp_ne_u32_e32 vcc, 0, v0
	v_or_b32_e32 v16, 0x1000, v9
	v_lshrrev_b32_e32 v18, v5, v14
	v_add_u32_e32 v13, 0xfffffc10, v13
	v_lshl_or_b32 v15, v11, 12, v0
	v_cndmask_b32_e64 v0, 0, 1, vcc
	v_cmp_ne_u32_e32 vcc, 0, v9
	v_lshrrev_b32_e32 v19, v12, v16
	v_lshlrev_b32_e32 v5, v5, v18
	v_lshl_or_b32 v17, v13, 12, v9
	v_cndmask_b32_e64 v9, 0, 1, vcc
	v_lshlrev_b32_e32 v12, v12, v19
	v_cmp_ne_u32_e32 vcc, v5, v14
	v_cndmask_b32_e64 v5, 0, 1, vcc
	v_cmp_ne_u32_e32 vcc, v12, v16
	v_cndmask_b32_e64 v12, 0, 1, vcc
	v_or_b32_e32 v5, v18, v5
	v_cmp_gt_i32_e32 vcc, 1, v11
	v_cndmask_b32_e32 v5, v15, v5, vcc
	v_or_b32_e32 v12, v19, v12
	v_cmp_gt_i32_e32 vcc, 1, v13
	v_and_b32_e32 v14, 7, v5
	v_cndmask_b32_e32 v12, v17, v12, vcc
	v_cmp_lt_i32_e32 vcc, 5, v14
	v_cmp_eq_u32_e64 s[0:1], 3, v14
	v_lshrrev_b32_e32 v5, 2, v5
	v_and_b32_e32 v15, 7, v12
	s_or_b64 vcc, s[0:1], vcc
	v_cmp_lt_i32_e64 s[2:3], 5, v15
	v_cmp_eq_u32_e64 s[4:5], 3, v15
	v_addc_co_u32_e32 v5, vcc, 0, v5, vcc
	v_lshrrev_b32_e32 v12, 2, v12
	s_or_b64 vcc, s[4:5], s[2:3]
	v_addc_co_u32_e32 v12, vcc, 0, v12, vcc
	v_cmp_gt_i32_e32 vcc, 31, v11
	v_cndmask_b32_e32 v5, v2, v5, vcc
	v_cmp_gt_i32_e32 vcc, 31, v13
	v_lshl_or_b32 v0, v0, 9, v2
	v_cndmask_b32_e32 v12, v2, v12, vcc
	v_cmp_eq_u32_e32 vcc, s18, v11
	v_lshrrev_b32_e32 v6, 16, v6
	v_lshl_or_b32 v9, v9, 9, v2
	v_cndmask_b32_e32 v0, v5, v0, vcc
	v_cmp_eq_u32_e32 vcc, s18, v13
	v_lshrrev_b32_e32 v10, 16, v10
	v_cndmask_b32_e32 v5, v12, v9, vcc
	v_and_or_b32 v0, v6, s17, v0
	v_and_or_b32 v5, v10, s17, v5
	v_and_b32_e32 v0, 0xffff, v0
	v_lshl_or_b32 v0, v5, 16, v0
	global_store_dword v[7:8], v0, off
	global_load_dword v0, v37, s[6:7] offset:1408
	v_lshrrev_b32_e32 v5, 16, v1
	v_mov_b32_e32 v9, s12
	v_add_co_u32_e32 v7, vcc, s11, v7
	v_addc_co_u32_e32 v8, vcc, v8, v9, vcc
	s_waitcnt vmcnt(0)
	v_mul_f16_sdwa v6, v5, v0 dst_sel:DWORD dst_unused:UNUSED_PAD src0_sel:DWORD src1_sel:WORD_1
	v_fma_f16 v6, v1, v0, v6
	v_mul_f16_sdwa v1, v1, v0 dst_sel:DWORD dst_unused:UNUSED_PAD src0_sel:DWORD src1_sel:WORD_1
	v_cvt_f32_f16_e32 v6, v6
	v_fma_f16 v0, v0, v5, -v1
	v_cvt_f32_f16_e32 v5, v0
	v_cvt_f64_f32_e32 v[0:1], v6
	v_cvt_f64_f32_e32 v[5:6], v5
	v_mul_f64 v[0:1], v[0:1], s[14:15]
	v_mul_f64 v[5:6], v[5:6], s[14:15]
	v_and_or_b32 v0, v1, s16, v0
	v_cmp_ne_u32_e32 vcc, 0, v0
	v_and_or_b32 v5, v6, s16, v5
	v_lshrrev_b32_e32 v9, 8, v1
	v_bfe_u32 v10, v1, 20, 11
	v_cndmask_b32_e64 v0, 0, 1, vcc
	v_cmp_ne_u32_e32 vcc, 0, v5
	v_lshrrev_b32_e32 v11, 8, v6
	v_bfe_u32 v12, v6, 20, 11
	v_sub_u32_e32 v13, 0x3f1, v10
	v_cndmask_b32_e64 v5, 0, 1, vcc
	v_and_or_b32 v0, v9, s10, v0
	v_sub_u32_e32 v14, 0x3f1, v12
	v_med3_i32 v9, v13, 0, 13
	v_and_or_b32 v5, v11, s10, v5
	v_or_b32_e32 v13, 0x1000, v0
	v_add_u32_e32 v10, 0xfffffc10, v10
	v_med3_i32 v11, v14, 0, 13
	v_cmp_ne_u32_e32 vcc, 0, v0
	v_or_b32_e32 v15, 0x1000, v5
	v_lshrrev_b32_e32 v17, v9, v13
	v_add_u32_e32 v12, 0xfffffc10, v12
	v_lshl_or_b32 v14, v10, 12, v0
	v_cndmask_b32_e64 v0, 0, 1, vcc
	v_cmp_ne_u32_e32 vcc, 0, v5
	v_lshrrev_b32_e32 v18, v11, v15
	v_lshlrev_b32_e32 v9, v9, v17
	v_lshl_or_b32 v16, v12, 12, v5
	v_cndmask_b32_e64 v5, 0, 1, vcc
	v_lshlrev_b32_e32 v11, v11, v18
	v_cmp_ne_u32_e32 vcc, v9, v13
	v_cndmask_b32_e64 v9, 0, 1, vcc
	v_cmp_ne_u32_e32 vcc, v11, v15
	v_cndmask_b32_e64 v11, 0, 1, vcc
	v_or_b32_e32 v9, v17, v9
	v_cmp_gt_i32_e32 vcc, 1, v10
	v_cndmask_b32_e32 v9, v14, v9, vcc
	v_or_b32_e32 v11, v18, v11
	v_cmp_gt_i32_e32 vcc, 1, v12
	v_and_b32_e32 v13, 7, v9
	v_cndmask_b32_e32 v11, v16, v11, vcc
	v_cmp_lt_i32_e32 vcc, 5, v13
	v_cmp_eq_u32_e64 s[0:1], 3, v13
	v_lshrrev_b32_e32 v9, 2, v9
	v_and_b32_e32 v14, 7, v11
	s_or_b64 vcc, s[0:1], vcc
	v_cmp_lt_i32_e64 s[2:3], 5, v14
	v_cmp_eq_u32_e64 s[4:5], 3, v14
	v_addc_co_u32_e32 v9, vcc, 0, v9, vcc
	v_lshrrev_b32_e32 v11, 2, v11
	s_or_b64 vcc, s[4:5], s[2:3]
	v_addc_co_u32_e32 v11, vcc, 0, v11, vcc
	v_cmp_gt_i32_e32 vcc, 31, v10
	v_cndmask_b32_e32 v9, v2, v9, vcc
	v_cmp_gt_i32_e32 vcc, 31, v12
	v_lshl_or_b32 v0, v0, 9, v2
	v_cndmask_b32_e32 v11, v2, v11, vcc
	v_cmp_eq_u32_e32 vcc, s18, v10
	v_lshrrev_b32_e32 v1, 16, v1
	v_lshl_or_b32 v5, v5, 9, v2
	v_cndmask_b32_e32 v0, v9, v0, vcc
	v_cmp_eq_u32_e32 vcc, s18, v12
	v_lshrrev_b32_e32 v6, 16, v6
	v_cndmask_b32_e32 v5, v11, v5, vcc
	v_and_or_b32 v0, v1, s17, v0
	v_and_or_b32 v1, v6, s17, v5
	v_and_b32_e32 v0, 0xffff, v0
	v_lshl_or_b32 v0, v1, 16, v0
	global_store_dword v[7:8], v0, off
	global_load_dword v5, v37, s[6:7] offset:1760
	v_add_u32_e32 v0, 0x600, v37
	ds_read2_b32 v[0:1], v0 offset0:56 offset1:144
	v_add_co_u32_e32 v7, vcc, s11, v7
	s_waitcnt lgkmcnt(0)
	v_lshrrev_b32_e32 v6, 16, v0
	s_waitcnt vmcnt(0)
	v_mul_f16_sdwa v9, v6, v5 dst_sel:DWORD dst_unused:UNUSED_PAD src0_sel:DWORD src1_sel:WORD_1
	v_fma_f16 v9, v0, v5, v9
	v_mul_f16_sdwa v0, v0, v5 dst_sel:DWORD dst_unused:UNUSED_PAD src0_sel:DWORD src1_sel:WORD_1
	v_cvt_f32_f16_e32 v9, v9
	v_fma_f16 v0, v5, v6, -v0
	v_cvt_f32_f16_e32 v0, v0
	v_cvt_f64_f32_e32 v[5:6], v9
	v_cvt_f64_f32_e32 v[9:10], v0
	v_mov_b32_e32 v0, s12
	v_mul_f64 v[5:6], v[5:6], s[14:15]
	v_addc_co_u32_e32 v8, vcc, v8, v0, vcc
	v_mul_f64 v[9:10], v[9:10], s[14:15]
	v_and_or_b32 v0, v6, s16, v5
	v_cmp_ne_u32_e32 vcc, 0, v0
	v_lshrrev_b32_e32 v5, 8, v6
	v_and_or_b32 v9, v10, s16, v9
	v_bfe_u32 v11, v6, 20, 11
	v_cndmask_b32_e64 v0, 0, 1, vcc
	v_cmp_ne_u32_e32 vcc, 0, v9
	v_lshrrev_b32_e32 v12, 8, v10
	v_bfe_u32 v13, v10, 20, 11
	v_sub_u32_e32 v14, 0x3f1, v11
	v_cndmask_b32_e64 v9, 0, 1, vcc
	v_and_or_b32 v0, v5, s10, v0
	v_sub_u32_e32 v15, 0x3f1, v13
	v_med3_i32 v5, v14, 0, 13
	v_and_or_b32 v9, v12, s10, v9
	v_or_b32_e32 v14, 0x1000, v0
	v_add_u32_e32 v11, 0xfffffc10, v11
	v_med3_i32 v12, v15, 0, 13
	v_cmp_ne_u32_e32 vcc, 0, v0
	v_or_b32_e32 v16, 0x1000, v9
	v_lshrrev_b32_e32 v18, v5, v14
	v_add_u32_e32 v13, 0xfffffc10, v13
	v_lshl_or_b32 v15, v11, 12, v0
	v_cndmask_b32_e64 v0, 0, 1, vcc
	v_cmp_ne_u32_e32 vcc, 0, v9
	v_lshrrev_b32_e32 v19, v12, v16
	v_lshlrev_b32_e32 v5, v5, v18
	v_lshl_or_b32 v17, v13, 12, v9
	v_cndmask_b32_e64 v9, 0, 1, vcc
	v_lshlrev_b32_e32 v12, v12, v19
	v_cmp_ne_u32_e32 vcc, v5, v14
	v_cndmask_b32_e64 v5, 0, 1, vcc
	v_cmp_ne_u32_e32 vcc, v12, v16
	v_cndmask_b32_e64 v12, 0, 1, vcc
	v_or_b32_e32 v5, v18, v5
	v_cmp_gt_i32_e32 vcc, 1, v11
	v_cndmask_b32_e32 v5, v15, v5, vcc
	v_or_b32_e32 v12, v19, v12
	v_cmp_gt_i32_e32 vcc, 1, v13
	v_and_b32_e32 v14, 7, v5
	v_cndmask_b32_e32 v12, v17, v12, vcc
	v_cmp_lt_i32_e32 vcc, 5, v14
	v_cmp_eq_u32_e64 s[0:1], 3, v14
	v_lshrrev_b32_e32 v5, 2, v5
	v_and_b32_e32 v15, 7, v12
	s_or_b64 vcc, s[0:1], vcc
	v_cmp_lt_i32_e64 s[2:3], 5, v15
	v_cmp_eq_u32_e64 s[4:5], 3, v15
	v_addc_co_u32_e32 v5, vcc, 0, v5, vcc
	v_lshrrev_b32_e32 v12, 2, v12
	s_or_b64 vcc, s[4:5], s[2:3]
	v_addc_co_u32_e32 v12, vcc, 0, v12, vcc
	v_cmp_gt_i32_e32 vcc, 31, v11
	v_cndmask_b32_e32 v5, v2, v5, vcc
	v_cmp_gt_i32_e32 vcc, 31, v13
	v_lshl_or_b32 v0, v0, 9, v2
	v_cndmask_b32_e32 v12, v2, v12, vcc
	v_cmp_eq_u32_e32 vcc, s18, v11
	v_lshrrev_b32_e32 v6, 16, v6
	v_lshl_or_b32 v9, v9, 9, v2
	v_cndmask_b32_e32 v0, v5, v0, vcc
	v_cmp_eq_u32_e32 vcc, s18, v13
	v_lshrrev_b32_e32 v10, 16, v10
	v_cndmask_b32_e32 v5, v12, v9, vcc
	v_and_or_b32 v0, v6, s17, v0
	v_and_or_b32 v5, v10, s17, v5
	v_and_b32_e32 v0, 0xffff, v0
	v_lshl_or_b32 v0, v5, 16, v0
	global_store_dword v[7:8], v0, off
	global_load_dword v0, v37, s[6:7] offset:2112
	v_lshrrev_b32_e32 v5, 16, v1
	v_mov_b32_e32 v9, s12
	v_add_co_u32_e32 v7, vcc, s11, v7
	v_addc_co_u32_e32 v8, vcc, v8, v9, vcc
	s_waitcnt vmcnt(0)
	v_mul_f16_sdwa v6, v5, v0 dst_sel:DWORD dst_unused:UNUSED_PAD src0_sel:DWORD src1_sel:WORD_1
	v_fma_f16 v6, v1, v0, v6
	v_mul_f16_sdwa v1, v1, v0 dst_sel:DWORD dst_unused:UNUSED_PAD src0_sel:DWORD src1_sel:WORD_1
	v_cvt_f32_f16_e32 v6, v6
	v_fma_f16 v0, v0, v5, -v1
	v_cvt_f32_f16_e32 v5, v0
	v_cvt_f64_f32_e32 v[0:1], v6
	v_cvt_f64_f32_e32 v[5:6], v5
	v_mul_f64 v[0:1], v[0:1], s[14:15]
	v_mul_f64 v[5:6], v[5:6], s[14:15]
	v_and_or_b32 v0, v1, s16, v0
	v_cmp_ne_u32_e32 vcc, 0, v0
	v_and_or_b32 v5, v6, s16, v5
	v_lshrrev_b32_e32 v9, 8, v1
	v_bfe_u32 v10, v1, 20, 11
	v_cndmask_b32_e64 v0, 0, 1, vcc
	v_cmp_ne_u32_e32 vcc, 0, v5
	v_lshrrev_b32_e32 v11, 8, v6
	v_bfe_u32 v12, v6, 20, 11
	v_sub_u32_e32 v13, 0x3f1, v10
	v_cndmask_b32_e64 v5, 0, 1, vcc
	v_and_or_b32 v0, v9, s10, v0
	v_sub_u32_e32 v14, 0x3f1, v12
	v_med3_i32 v9, v13, 0, 13
	v_and_or_b32 v5, v11, s10, v5
	v_or_b32_e32 v13, 0x1000, v0
	v_add_u32_e32 v10, 0xfffffc10, v10
	v_med3_i32 v11, v14, 0, 13
	v_cmp_ne_u32_e32 vcc, 0, v0
	v_or_b32_e32 v15, 0x1000, v5
	v_lshrrev_b32_e32 v17, v9, v13
	v_add_u32_e32 v12, 0xfffffc10, v12
	v_lshl_or_b32 v14, v10, 12, v0
	v_cndmask_b32_e64 v0, 0, 1, vcc
	v_cmp_ne_u32_e32 vcc, 0, v5
	v_lshrrev_b32_e32 v18, v11, v15
	v_lshlrev_b32_e32 v9, v9, v17
	v_lshl_or_b32 v16, v12, 12, v5
	v_cndmask_b32_e64 v5, 0, 1, vcc
	v_lshlrev_b32_e32 v11, v11, v18
	v_cmp_ne_u32_e32 vcc, v9, v13
	v_cndmask_b32_e64 v9, 0, 1, vcc
	v_cmp_ne_u32_e32 vcc, v11, v15
	v_cndmask_b32_e64 v11, 0, 1, vcc
	v_or_b32_e32 v9, v17, v9
	v_cmp_gt_i32_e32 vcc, 1, v10
	v_cndmask_b32_e32 v9, v14, v9, vcc
	v_or_b32_e32 v11, v18, v11
	v_cmp_gt_i32_e32 vcc, 1, v12
	v_and_b32_e32 v13, 7, v9
	v_cndmask_b32_e32 v11, v16, v11, vcc
	v_cmp_lt_i32_e32 vcc, 5, v13
	v_cmp_eq_u32_e64 s[0:1], 3, v13
	v_lshrrev_b32_e32 v9, 2, v9
	v_and_b32_e32 v14, 7, v11
	s_or_b64 vcc, s[0:1], vcc
	v_cmp_lt_i32_e64 s[2:3], 5, v14
	v_cmp_eq_u32_e64 s[4:5], 3, v14
	v_addc_co_u32_e32 v9, vcc, 0, v9, vcc
	v_lshrrev_b32_e32 v11, 2, v11
	s_or_b64 vcc, s[4:5], s[2:3]
	v_addc_co_u32_e32 v11, vcc, 0, v11, vcc
	v_cmp_gt_i32_e32 vcc, 31, v10
	v_cndmask_b32_e32 v9, v2, v9, vcc
	v_cmp_gt_i32_e32 vcc, 31, v12
	v_lshl_or_b32 v0, v0, 9, v2
	v_cndmask_b32_e32 v11, v2, v11, vcc
	v_cmp_eq_u32_e32 vcc, s18, v10
	v_lshrrev_b32_e32 v1, 16, v1
	v_lshl_or_b32 v5, v5, 9, v2
	v_cndmask_b32_e32 v0, v9, v0, vcc
	v_cmp_eq_u32_e32 vcc, s18, v12
	v_lshrrev_b32_e32 v6, 16, v6
	v_cndmask_b32_e32 v5, v11, v5, vcc
	v_and_or_b32 v0, v1, s17, v0
	v_and_or_b32 v1, v6, s17, v5
	v_and_b32_e32 v0, 0xffff, v0
	v_lshl_or_b32 v0, v1, 16, v0
	global_store_dword v[7:8], v0, off
	global_load_dword v5, v37, s[6:7] offset:2464
	v_add_u32_e32 v0, 0x800, v37
	ds_read2_b32 v[0:1], v0 offset0:104 offset1:192
	v_add_co_u32_e32 v7, vcc, s11, v7
	s_waitcnt lgkmcnt(0)
	v_lshrrev_b32_e32 v6, 16, v0
	s_waitcnt vmcnt(0)
	v_mul_f16_sdwa v9, v6, v5 dst_sel:DWORD dst_unused:UNUSED_PAD src0_sel:DWORD src1_sel:WORD_1
	v_fma_f16 v9, v0, v5, v9
	v_mul_f16_sdwa v0, v0, v5 dst_sel:DWORD dst_unused:UNUSED_PAD src0_sel:DWORD src1_sel:WORD_1
	v_cvt_f32_f16_e32 v9, v9
	v_fma_f16 v0, v5, v6, -v0
	v_cvt_f32_f16_e32 v0, v0
	v_cvt_f64_f32_e32 v[5:6], v9
	v_cvt_f64_f32_e32 v[9:10], v0
	v_mov_b32_e32 v0, s12
	v_mul_f64 v[5:6], v[5:6], s[14:15]
	v_addc_co_u32_e32 v8, vcc, v8, v0, vcc
	v_mul_f64 v[9:10], v[9:10], s[14:15]
	v_and_or_b32 v0, v6, s16, v5
	v_cmp_ne_u32_e32 vcc, 0, v0
	v_lshrrev_b32_e32 v5, 8, v6
	v_and_or_b32 v9, v10, s16, v9
	v_bfe_u32 v11, v6, 20, 11
	v_cndmask_b32_e64 v0, 0, 1, vcc
	v_cmp_ne_u32_e32 vcc, 0, v9
	v_lshrrev_b32_e32 v12, 8, v10
	v_bfe_u32 v13, v10, 20, 11
	v_sub_u32_e32 v14, 0x3f1, v11
	v_cndmask_b32_e64 v9, 0, 1, vcc
	v_and_or_b32 v0, v5, s10, v0
	v_sub_u32_e32 v15, 0x3f1, v13
	v_med3_i32 v5, v14, 0, 13
	v_and_or_b32 v9, v12, s10, v9
	v_or_b32_e32 v14, 0x1000, v0
	v_add_u32_e32 v11, 0xfffffc10, v11
	v_med3_i32 v12, v15, 0, 13
	v_cmp_ne_u32_e32 vcc, 0, v0
	v_or_b32_e32 v16, 0x1000, v9
	v_lshrrev_b32_e32 v18, v5, v14
	v_add_u32_e32 v13, 0xfffffc10, v13
	v_lshl_or_b32 v15, v11, 12, v0
	v_cndmask_b32_e64 v0, 0, 1, vcc
	v_cmp_ne_u32_e32 vcc, 0, v9
	v_lshrrev_b32_e32 v19, v12, v16
	v_lshlrev_b32_e32 v5, v5, v18
	v_lshl_or_b32 v17, v13, 12, v9
	v_cndmask_b32_e64 v9, 0, 1, vcc
	v_lshlrev_b32_e32 v12, v12, v19
	v_cmp_ne_u32_e32 vcc, v5, v14
	v_cndmask_b32_e64 v5, 0, 1, vcc
	v_cmp_ne_u32_e32 vcc, v12, v16
	v_cndmask_b32_e64 v12, 0, 1, vcc
	v_or_b32_e32 v5, v18, v5
	v_cmp_gt_i32_e32 vcc, 1, v11
	v_cndmask_b32_e32 v5, v15, v5, vcc
	v_or_b32_e32 v12, v19, v12
	v_cmp_gt_i32_e32 vcc, 1, v13
	v_and_b32_e32 v14, 7, v5
	v_cndmask_b32_e32 v12, v17, v12, vcc
	v_cmp_lt_i32_e32 vcc, 5, v14
	v_cmp_eq_u32_e64 s[0:1], 3, v14
	v_lshrrev_b32_e32 v5, 2, v5
	v_and_b32_e32 v15, 7, v12
	s_or_b64 vcc, s[0:1], vcc
	v_cmp_lt_i32_e64 s[2:3], 5, v15
	v_cmp_eq_u32_e64 s[4:5], 3, v15
	v_addc_co_u32_e32 v5, vcc, 0, v5, vcc
	v_lshrrev_b32_e32 v12, 2, v12
	s_or_b64 vcc, s[4:5], s[2:3]
	v_addc_co_u32_e32 v12, vcc, 0, v12, vcc
	v_cmp_gt_i32_e32 vcc, 31, v11
	v_cndmask_b32_e32 v5, v2, v5, vcc
	v_cmp_gt_i32_e32 vcc, 31, v13
	v_lshl_or_b32 v0, v0, 9, v2
	v_cndmask_b32_e32 v12, v2, v12, vcc
	v_cmp_eq_u32_e32 vcc, s18, v11
	v_lshrrev_b32_e32 v6, 16, v6
	v_lshl_or_b32 v9, v9, 9, v2
	v_cndmask_b32_e32 v0, v5, v0, vcc
	v_cmp_eq_u32_e32 vcc, s18, v13
	v_lshrrev_b32_e32 v10, 16, v10
	v_cndmask_b32_e32 v5, v12, v9, vcc
	v_and_or_b32 v0, v6, s17, v0
	v_and_or_b32 v5, v10, s17, v5
	v_and_b32_e32 v0, 0xffff, v0
	v_lshl_or_b32 v0, v5, 16, v0
	global_store_dword v[7:8], v0, off
	global_load_dword v0, v37, s[6:7] offset:2816
	v_lshrrev_b32_e32 v5, 16, v1
	v_mov_b32_e32 v9, s12
	v_add_co_u32_e32 v7, vcc, s11, v7
	v_addc_co_u32_e32 v8, vcc, v8, v9, vcc
	s_waitcnt vmcnt(0)
	v_mul_f16_sdwa v6, v5, v0 dst_sel:DWORD dst_unused:UNUSED_PAD src0_sel:DWORD src1_sel:WORD_1
	v_fma_f16 v6, v1, v0, v6
	v_mul_f16_sdwa v1, v1, v0 dst_sel:DWORD dst_unused:UNUSED_PAD src0_sel:DWORD src1_sel:WORD_1
	v_cvt_f32_f16_e32 v6, v6
	v_fma_f16 v0, v0, v5, -v1
	v_cvt_f32_f16_e32 v5, v0
	v_cvt_f64_f32_e32 v[0:1], v6
	v_cvt_f64_f32_e32 v[5:6], v5
	v_mul_f64 v[0:1], v[0:1], s[14:15]
	v_mul_f64 v[5:6], v[5:6], s[14:15]
	v_and_or_b32 v0, v1, s16, v0
	v_cmp_ne_u32_e32 vcc, 0, v0
	v_and_or_b32 v5, v6, s16, v5
	v_lshrrev_b32_e32 v9, 8, v1
	v_bfe_u32 v10, v1, 20, 11
	v_cndmask_b32_e64 v0, 0, 1, vcc
	v_cmp_ne_u32_e32 vcc, 0, v5
	v_lshrrev_b32_e32 v11, 8, v6
	v_bfe_u32 v12, v6, 20, 11
	v_sub_u32_e32 v13, 0x3f1, v10
	v_cndmask_b32_e64 v5, 0, 1, vcc
	v_and_or_b32 v0, v9, s10, v0
	v_sub_u32_e32 v14, 0x3f1, v12
	v_med3_i32 v9, v13, 0, 13
	v_and_or_b32 v5, v11, s10, v5
	v_or_b32_e32 v13, 0x1000, v0
	v_add_u32_e32 v10, 0xfffffc10, v10
	v_med3_i32 v11, v14, 0, 13
	v_cmp_ne_u32_e32 vcc, 0, v0
	v_or_b32_e32 v15, 0x1000, v5
	v_lshrrev_b32_e32 v17, v9, v13
	v_add_u32_e32 v12, 0xfffffc10, v12
	v_lshl_or_b32 v14, v10, 12, v0
	v_cndmask_b32_e64 v0, 0, 1, vcc
	v_cmp_ne_u32_e32 vcc, 0, v5
	v_lshrrev_b32_e32 v18, v11, v15
	v_lshlrev_b32_e32 v9, v9, v17
	v_lshl_or_b32 v16, v12, 12, v5
	v_cndmask_b32_e64 v5, 0, 1, vcc
	v_lshlrev_b32_e32 v11, v11, v18
	v_cmp_ne_u32_e32 vcc, v9, v13
	v_cndmask_b32_e64 v9, 0, 1, vcc
	v_cmp_ne_u32_e32 vcc, v11, v15
	v_cndmask_b32_e64 v11, 0, 1, vcc
	v_or_b32_e32 v9, v17, v9
	v_cmp_gt_i32_e32 vcc, 1, v10
	v_cndmask_b32_e32 v9, v14, v9, vcc
	v_or_b32_e32 v11, v18, v11
	v_cmp_gt_i32_e32 vcc, 1, v12
	v_and_b32_e32 v13, 7, v9
	v_cndmask_b32_e32 v11, v16, v11, vcc
	v_cmp_lt_i32_e32 vcc, 5, v13
	v_cmp_eq_u32_e64 s[0:1], 3, v13
	v_lshrrev_b32_e32 v9, 2, v9
	v_and_b32_e32 v14, 7, v11
	s_or_b64 vcc, s[0:1], vcc
	v_cmp_lt_i32_e64 s[2:3], 5, v14
	v_cmp_eq_u32_e64 s[4:5], 3, v14
	v_addc_co_u32_e32 v9, vcc, 0, v9, vcc
	v_lshrrev_b32_e32 v11, 2, v11
	s_or_b64 vcc, s[4:5], s[2:3]
	v_addc_co_u32_e32 v11, vcc, 0, v11, vcc
	v_cmp_gt_i32_e32 vcc, 31, v10
	v_cndmask_b32_e32 v9, v2, v9, vcc
	v_cmp_gt_i32_e32 vcc, 31, v12
	v_lshl_or_b32 v0, v0, 9, v2
	v_cndmask_b32_e32 v11, v2, v11, vcc
	v_cmp_eq_u32_e32 vcc, s18, v10
	v_lshrrev_b32_e32 v1, 16, v1
	v_lshl_or_b32 v5, v5, 9, v2
	v_cndmask_b32_e32 v0, v9, v0, vcc
	v_cmp_eq_u32_e32 vcc, s18, v12
	v_lshrrev_b32_e32 v6, 16, v6
	v_cndmask_b32_e32 v5, v11, v5, vcc
	v_and_or_b32 v0, v1, s17, v0
	v_and_or_b32 v1, v6, s17, v5
	v_and_b32_e32 v0, 0xffff, v0
	v_lshl_or_b32 v0, v1, 16, v0
	global_store_dword v[7:8], v0, off
	global_load_dword v5, v37, s[6:7] offset:3168
	v_add_u32_e32 v0, 0xc00, v37
	ds_read2_b32 v[0:1], v0 offset0:24 offset1:112
	v_add_co_u32_e32 v7, vcc, s11, v7
	s_waitcnt lgkmcnt(0)
	v_lshrrev_b32_e32 v6, 16, v0
	s_waitcnt vmcnt(0)
	v_mul_f16_sdwa v9, v6, v5 dst_sel:DWORD dst_unused:UNUSED_PAD src0_sel:DWORD src1_sel:WORD_1
	v_fma_f16 v9, v0, v5, v9
	v_mul_f16_sdwa v0, v0, v5 dst_sel:DWORD dst_unused:UNUSED_PAD src0_sel:DWORD src1_sel:WORD_1
	v_cvt_f32_f16_e32 v9, v9
	v_fma_f16 v0, v5, v6, -v0
	v_cvt_f32_f16_e32 v0, v0
	v_cvt_f64_f32_e32 v[5:6], v9
	v_cvt_f64_f32_e32 v[9:10], v0
	v_mov_b32_e32 v0, s12
	v_mul_f64 v[5:6], v[5:6], s[14:15]
	v_addc_co_u32_e32 v8, vcc, v8, v0, vcc
	v_mul_f64 v[9:10], v[9:10], s[14:15]
	v_and_or_b32 v0, v6, s16, v5
	v_cmp_ne_u32_e32 vcc, 0, v0
	v_lshrrev_b32_e32 v5, 8, v6
	v_and_or_b32 v9, v10, s16, v9
	v_bfe_u32 v11, v6, 20, 11
	v_cndmask_b32_e64 v0, 0, 1, vcc
	v_cmp_ne_u32_e32 vcc, 0, v9
	v_lshrrev_b32_e32 v12, 8, v10
	v_bfe_u32 v13, v10, 20, 11
	v_sub_u32_e32 v14, 0x3f1, v11
	v_cndmask_b32_e64 v9, 0, 1, vcc
	v_and_or_b32 v0, v5, s10, v0
	v_sub_u32_e32 v15, 0x3f1, v13
	v_med3_i32 v5, v14, 0, 13
	v_and_or_b32 v9, v12, s10, v9
	v_or_b32_e32 v14, 0x1000, v0
	v_add_u32_e32 v11, 0xfffffc10, v11
	v_med3_i32 v12, v15, 0, 13
	v_cmp_ne_u32_e32 vcc, 0, v0
	v_or_b32_e32 v16, 0x1000, v9
	v_lshrrev_b32_e32 v18, v5, v14
	v_add_u32_e32 v13, 0xfffffc10, v13
	v_lshl_or_b32 v15, v11, 12, v0
	v_cndmask_b32_e64 v0, 0, 1, vcc
	v_cmp_ne_u32_e32 vcc, 0, v9
	v_lshrrev_b32_e32 v19, v12, v16
	v_lshlrev_b32_e32 v5, v5, v18
	v_lshl_or_b32 v17, v13, 12, v9
	v_cndmask_b32_e64 v9, 0, 1, vcc
	v_lshlrev_b32_e32 v12, v12, v19
	v_cmp_ne_u32_e32 vcc, v5, v14
	v_cndmask_b32_e64 v5, 0, 1, vcc
	v_cmp_ne_u32_e32 vcc, v12, v16
	v_cndmask_b32_e64 v12, 0, 1, vcc
	v_or_b32_e32 v5, v18, v5
	v_cmp_gt_i32_e32 vcc, 1, v11
	v_cndmask_b32_e32 v5, v15, v5, vcc
	v_or_b32_e32 v12, v19, v12
	v_cmp_gt_i32_e32 vcc, 1, v13
	v_and_b32_e32 v14, 7, v5
	v_cndmask_b32_e32 v12, v17, v12, vcc
	v_cmp_lt_i32_e32 vcc, 5, v14
	v_cmp_eq_u32_e64 s[0:1], 3, v14
	v_lshrrev_b32_e32 v5, 2, v5
	v_and_b32_e32 v15, 7, v12
	s_or_b64 vcc, s[0:1], vcc
	v_cmp_lt_i32_e64 s[2:3], 5, v15
	v_cmp_eq_u32_e64 s[4:5], 3, v15
	v_addc_co_u32_e32 v5, vcc, 0, v5, vcc
	v_lshrrev_b32_e32 v12, 2, v12
	s_or_b64 vcc, s[4:5], s[2:3]
	v_addc_co_u32_e32 v12, vcc, 0, v12, vcc
	v_cmp_gt_i32_e32 vcc, 31, v11
	v_cndmask_b32_e32 v5, v2, v5, vcc
	v_cmp_gt_i32_e32 vcc, 31, v13
	v_lshl_or_b32 v0, v0, 9, v2
	v_cndmask_b32_e32 v12, v2, v12, vcc
	v_cmp_eq_u32_e32 vcc, s18, v11
	v_lshrrev_b32_e32 v6, 16, v6
	v_lshl_or_b32 v9, v9, 9, v2
	v_cndmask_b32_e32 v0, v5, v0, vcc
	v_cmp_eq_u32_e32 vcc, s18, v13
	v_lshrrev_b32_e32 v10, 16, v10
	v_cndmask_b32_e32 v5, v12, v9, vcc
	v_and_or_b32 v0, v6, s17, v0
	v_and_or_b32 v5, v10, s17, v5
	v_and_b32_e32 v0, 0xffff, v0
	v_lshl_or_b32 v0, v5, 16, v0
	global_store_dword v[7:8], v0, off
	global_load_dword v0, v37, s[6:7] offset:3520
	v_lshrrev_b32_e32 v5, 16, v1
	v_mov_b32_e32 v9, s12
	v_add_co_u32_e32 v7, vcc, s11, v7
	v_addc_co_u32_e32 v8, vcc, v8, v9, vcc
	s_waitcnt vmcnt(0)
	v_mul_f16_sdwa v6, v5, v0 dst_sel:DWORD dst_unused:UNUSED_PAD src0_sel:DWORD src1_sel:WORD_1
	v_fma_f16 v6, v1, v0, v6
	v_mul_f16_sdwa v1, v1, v0 dst_sel:DWORD dst_unused:UNUSED_PAD src0_sel:DWORD src1_sel:WORD_1
	v_cvt_f32_f16_e32 v6, v6
	v_fma_f16 v0, v0, v5, -v1
	v_cvt_f32_f16_e32 v5, v0
	v_cvt_f64_f32_e32 v[0:1], v6
	v_cvt_f64_f32_e32 v[5:6], v5
	v_mul_f64 v[0:1], v[0:1], s[14:15]
	v_mul_f64 v[5:6], v[5:6], s[14:15]
	v_and_or_b32 v0, v1, s16, v0
	v_cmp_ne_u32_e32 vcc, 0, v0
	v_and_or_b32 v5, v6, s16, v5
	v_lshrrev_b32_e32 v9, 8, v1
	v_bfe_u32 v10, v1, 20, 11
	v_cndmask_b32_e64 v0, 0, 1, vcc
	v_cmp_ne_u32_e32 vcc, 0, v5
	v_lshrrev_b32_e32 v11, 8, v6
	v_bfe_u32 v12, v6, 20, 11
	v_sub_u32_e32 v13, 0x3f1, v10
	v_cndmask_b32_e64 v5, 0, 1, vcc
	v_and_or_b32 v0, v9, s10, v0
	v_sub_u32_e32 v14, 0x3f1, v12
	v_med3_i32 v9, v13, 0, 13
	v_and_or_b32 v5, v11, s10, v5
	v_or_b32_e32 v13, 0x1000, v0
	v_add_u32_e32 v10, 0xfffffc10, v10
	v_med3_i32 v11, v14, 0, 13
	v_cmp_ne_u32_e32 vcc, 0, v0
	v_or_b32_e32 v15, 0x1000, v5
	v_lshrrev_b32_e32 v17, v9, v13
	v_add_u32_e32 v12, 0xfffffc10, v12
	v_lshl_or_b32 v14, v10, 12, v0
	v_cndmask_b32_e64 v0, 0, 1, vcc
	v_cmp_ne_u32_e32 vcc, 0, v5
	v_lshrrev_b32_e32 v18, v11, v15
	v_lshlrev_b32_e32 v9, v9, v17
	v_lshl_or_b32 v16, v12, 12, v5
	v_cndmask_b32_e64 v5, 0, 1, vcc
	v_lshlrev_b32_e32 v11, v11, v18
	v_cmp_ne_u32_e32 vcc, v9, v13
	v_cndmask_b32_e64 v9, 0, 1, vcc
	v_cmp_ne_u32_e32 vcc, v11, v15
	v_cndmask_b32_e64 v11, 0, 1, vcc
	v_or_b32_e32 v9, v17, v9
	v_cmp_gt_i32_e32 vcc, 1, v10
	v_cndmask_b32_e32 v9, v14, v9, vcc
	v_or_b32_e32 v11, v18, v11
	v_cmp_gt_i32_e32 vcc, 1, v12
	v_and_b32_e32 v13, 7, v9
	v_cndmask_b32_e32 v11, v16, v11, vcc
	v_cmp_lt_i32_e32 vcc, 5, v13
	v_cmp_eq_u32_e64 s[0:1], 3, v13
	v_lshrrev_b32_e32 v9, 2, v9
	v_and_b32_e32 v14, 7, v11
	s_or_b64 vcc, s[0:1], vcc
	v_cmp_lt_i32_e64 s[2:3], 5, v14
	v_cmp_eq_u32_e64 s[4:5], 3, v14
	v_addc_co_u32_e32 v9, vcc, 0, v9, vcc
	v_lshrrev_b32_e32 v11, 2, v11
	s_or_b64 vcc, s[4:5], s[2:3]
	v_addc_co_u32_e32 v11, vcc, 0, v11, vcc
	v_cmp_gt_i32_e32 vcc, 31, v10
	v_cndmask_b32_e32 v9, v2, v9, vcc
	v_cmp_gt_i32_e32 vcc, 31, v12
	v_lshl_or_b32 v0, v0, 9, v2
	v_cndmask_b32_e32 v11, v2, v11, vcc
	v_cmp_eq_u32_e32 vcc, s18, v10
	v_lshrrev_b32_e32 v1, 16, v1
	v_lshl_or_b32 v5, v5, 9, v2
	v_cndmask_b32_e32 v0, v9, v0, vcc
	v_cmp_eq_u32_e32 vcc, s18, v12
	v_lshrrev_b32_e32 v6, 16, v6
	v_cndmask_b32_e32 v5, v11, v5, vcc
	v_and_or_b32 v0, v1, s17, v0
	v_and_or_b32 v1, v6, s17, v5
	v_and_b32_e32 v0, 0xffff, v0
	v_lshl_or_b32 v0, v1, 16, v0
	global_store_dword v[7:8], v0, off
	global_load_dword v0, v37, s[6:7] offset:3872
	v_add_u32_e32 v1, 0xe00, v37
	ds_read2_b32 v[5:6], v1 offset0:72 offset1:160
	v_mov_b32_e32 v9, s7
	v_add_co_u32_e32 v13, vcc, s6, v37
	v_addc_co_u32_e32 v14, vcc, 0, v9, vcc
	s_waitcnt lgkmcnt(0)
	v_lshrrev_b32_e32 v1, 16, v5
	s_movk_i32 s0, 0x1000
	v_mov_b32_e32 v15, s12
	s_waitcnt vmcnt(0)
	v_mul_f16_sdwa v10, v1, v0 dst_sel:DWORD dst_unused:UNUSED_PAD src0_sel:DWORD src1_sel:WORD_1
	v_fma_f16 v10, v5, v0, v10
	v_mul_f16_sdwa v5, v5, v0 dst_sel:DWORD dst_unused:UNUSED_PAD src0_sel:DWORD src1_sel:WORD_1
	v_cvt_f32_f16_e32 v10, v10
	v_fma_f16 v0, v0, v1, -v5
	v_cvt_f32_f16_e32 v5, v0
	v_cvt_f64_f32_e32 v[0:1], v10
	v_cvt_f64_f32_e32 v[9:10], v5
	v_mul_f64 v[11:12], v[0:1], s[14:15]
	v_add_co_u32_e32 v0, vcc, s0, v13
	v_mul_f64 v[9:10], v[9:10], s[14:15]
	v_addc_co_u32_e32 v1, vcc, 0, v14, vcc
	v_add_co_u32_e32 v7, vcc, s11, v7
	v_addc_co_u32_e32 v8, vcc, v8, v15, vcc
	v_and_or_b32 v5, v12, s16, v11
	v_and_or_b32 v9, v10, s16, v9
	v_cmp_ne_u32_e32 vcc, 0, v5
	v_lshrrev_b32_e32 v11, 8, v12
	v_bfe_u32 v13, v12, 20, 11
	v_cndmask_b32_e64 v5, 0, 1, vcc
	v_cmp_ne_u32_e32 vcc, 0, v9
	v_lshrrev_b32_e32 v14, 8, v10
	v_bfe_u32 v15, v10, 20, 11
	v_sub_u32_e32 v16, 0x3f1, v13
	v_cndmask_b32_e64 v9, 0, 1, vcc
	v_and_or_b32 v5, v11, s10, v5
	v_sub_u32_e32 v17, 0x3f1, v15
	v_med3_i32 v11, v16, 0, 13
	v_and_or_b32 v9, v14, s10, v9
	v_or_b32_e32 v16, 0x1000, v5
	v_add_u32_e32 v13, 0xfffffc10, v13
	v_med3_i32 v14, v17, 0, 13
	v_cmp_ne_u32_e32 vcc, 0, v5
	v_or_b32_e32 v18, 0x1000, v9
	v_lshrrev_b32_e32 v20, v11, v16
	v_add_u32_e32 v15, 0xfffffc10, v15
	v_lshl_or_b32 v17, v13, 12, v5
	v_cndmask_b32_e64 v5, 0, 1, vcc
	v_cmp_ne_u32_e32 vcc, 0, v9
	v_lshrrev_b32_e32 v21, v14, v18
	v_lshlrev_b32_e32 v11, v11, v20
	v_lshl_or_b32 v19, v15, 12, v9
	v_cndmask_b32_e64 v9, 0, 1, vcc
	v_lshlrev_b32_e32 v14, v14, v21
	v_cmp_ne_u32_e32 vcc, v11, v16
	v_cndmask_b32_e64 v11, 0, 1, vcc
	v_cmp_ne_u32_e32 vcc, v14, v18
	v_cndmask_b32_e64 v14, 0, 1, vcc
	v_or_b32_e32 v11, v20, v11
	v_cmp_gt_i32_e32 vcc, 1, v13
	v_cndmask_b32_e32 v11, v17, v11, vcc
	v_or_b32_e32 v14, v21, v14
	v_cmp_gt_i32_e32 vcc, 1, v15
	v_and_b32_e32 v16, 7, v11
	v_cndmask_b32_e32 v14, v19, v14, vcc
	v_cmp_lt_i32_e32 vcc, 5, v16
	v_cmp_eq_u32_e64 s[0:1], 3, v16
	v_lshrrev_b32_e32 v11, 2, v11
	v_and_b32_e32 v17, 7, v14
	s_or_b64 vcc, s[0:1], vcc
	v_cmp_lt_i32_e64 s[2:3], 5, v17
	v_cmp_eq_u32_e64 s[4:5], 3, v17
	v_addc_co_u32_e32 v11, vcc, 0, v11, vcc
	v_lshrrev_b32_e32 v14, 2, v14
	s_or_b64 vcc, s[4:5], s[2:3]
	v_addc_co_u32_e32 v14, vcc, 0, v14, vcc
	v_cmp_gt_i32_e32 vcc, 31, v13
	v_cndmask_b32_e32 v11, v2, v11, vcc
	v_cmp_gt_i32_e32 vcc, 31, v15
	v_lshl_or_b32 v5, v5, 9, v2
	v_cndmask_b32_e32 v14, v2, v14, vcc
	v_cmp_eq_u32_e32 vcc, s18, v13
	v_lshrrev_b32_e32 v12, 16, v12
	v_lshl_or_b32 v9, v9, 9, v2
	v_cndmask_b32_e32 v5, v11, v5, vcc
	v_cmp_eq_u32_e32 vcc, s18, v15
	v_lshrrev_b32_e32 v10, 16, v10
	v_cndmask_b32_e32 v9, v14, v9, vcc
	v_and_or_b32 v5, v12, s17, v5
	v_and_or_b32 v9, v10, s17, v9
	v_and_b32_e32 v5, 0xffff, v5
	v_lshl_or_b32 v5, v9, 16, v5
	global_store_dword v[7:8], v5, off
	global_load_dword v5, v[0:1], off offset:128
	v_lshrrev_b32_e32 v9, 16, v6
	v_mov_b32_e32 v11, s12
	v_add_co_u32_e32 v7, vcc, s11, v7
	v_addc_co_u32_e32 v8, vcc, v8, v11, vcc
	s_waitcnt vmcnt(0)
	v_mul_f16_sdwa v10, v9, v5 dst_sel:DWORD dst_unused:UNUSED_PAD src0_sel:DWORD src1_sel:WORD_1
	v_fma_f16 v10, v6, v5, v10
	v_mul_f16_sdwa v6, v6, v5 dst_sel:DWORD dst_unused:UNUSED_PAD src0_sel:DWORD src1_sel:WORD_1
	v_cvt_f32_f16_e32 v10, v10
	v_fma_f16 v5, v5, v9, -v6
	v_cvt_f32_f16_e32 v9, v5
	v_cvt_f64_f32_e32 v[5:6], v10
	v_cvt_f64_f32_e32 v[9:10], v9
	v_mul_f64 v[5:6], v[5:6], s[14:15]
	v_mul_f64 v[9:10], v[9:10], s[14:15]
	v_and_or_b32 v5, v6, s16, v5
	v_cmp_ne_u32_e32 vcc, 0, v5
	v_and_or_b32 v9, v10, s16, v9
	v_lshrrev_b32_e32 v11, 8, v6
	v_bfe_u32 v12, v6, 20, 11
	v_cndmask_b32_e64 v5, 0, 1, vcc
	v_cmp_ne_u32_e32 vcc, 0, v9
	v_lshrrev_b32_e32 v13, 8, v10
	v_bfe_u32 v14, v10, 20, 11
	v_sub_u32_e32 v15, 0x3f1, v12
	v_cndmask_b32_e64 v9, 0, 1, vcc
	v_and_or_b32 v5, v11, s10, v5
	v_sub_u32_e32 v16, 0x3f1, v14
	v_med3_i32 v11, v15, 0, 13
	v_and_or_b32 v9, v13, s10, v9
	v_or_b32_e32 v15, 0x1000, v5
	v_add_u32_e32 v12, 0xfffffc10, v12
	v_med3_i32 v13, v16, 0, 13
	v_cmp_ne_u32_e32 vcc, 0, v5
	v_or_b32_e32 v17, 0x1000, v9
	v_lshrrev_b32_e32 v19, v11, v15
	v_add_u32_e32 v14, 0xfffffc10, v14
	v_lshl_or_b32 v16, v12, 12, v5
	v_cndmask_b32_e64 v5, 0, 1, vcc
	v_cmp_ne_u32_e32 vcc, 0, v9
	v_lshrrev_b32_e32 v20, v13, v17
	v_lshlrev_b32_e32 v11, v11, v19
	v_lshl_or_b32 v18, v14, 12, v9
	v_cndmask_b32_e64 v9, 0, 1, vcc
	v_lshlrev_b32_e32 v13, v13, v20
	v_cmp_ne_u32_e32 vcc, v11, v15
	v_cndmask_b32_e64 v11, 0, 1, vcc
	v_cmp_ne_u32_e32 vcc, v13, v17
	v_cndmask_b32_e64 v13, 0, 1, vcc
	v_or_b32_e32 v11, v19, v11
	v_cmp_gt_i32_e32 vcc, 1, v12
	v_cndmask_b32_e32 v11, v16, v11, vcc
	v_or_b32_e32 v13, v20, v13
	v_cmp_gt_i32_e32 vcc, 1, v14
	v_and_b32_e32 v15, 7, v11
	v_cndmask_b32_e32 v13, v18, v13, vcc
	v_cmp_lt_i32_e32 vcc, 5, v15
	v_cmp_eq_u32_e64 s[0:1], 3, v15
	v_lshrrev_b32_e32 v11, 2, v11
	v_and_b32_e32 v16, 7, v13
	s_or_b64 vcc, s[0:1], vcc
	v_cmp_lt_i32_e64 s[2:3], 5, v16
	v_cmp_eq_u32_e64 s[4:5], 3, v16
	v_addc_co_u32_e32 v11, vcc, 0, v11, vcc
	v_lshrrev_b32_e32 v13, 2, v13
	s_or_b64 vcc, s[4:5], s[2:3]
	v_addc_co_u32_e32 v13, vcc, 0, v13, vcc
	v_cmp_gt_i32_e32 vcc, 31, v12
	v_cndmask_b32_e32 v11, v2, v11, vcc
	v_cmp_gt_i32_e32 vcc, 31, v14
	v_lshl_or_b32 v5, v5, 9, v2
	v_cndmask_b32_e32 v13, v2, v13, vcc
	v_cmp_eq_u32_e32 vcc, s18, v12
	v_lshrrev_b32_e32 v6, 16, v6
	v_lshl_or_b32 v9, v9, 9, v2
	v_cndmask_b32_e32 v5, v11, v5, vcc
	v_cmp_eq_u32_e32 vcc, s18, v14
	v_lshrrev_b32_e32 v10, 16, v10
	v_cndmask_b32_e32 v9, v13, v9, vcc
	v_and_or_b32 v5, v6, s17, v5
	v_and_or_b32 v6, v10, s17, v9
	v_and_b32_e32 v5, 0xffff, v5
	v_lshl_or_b32 v5, v6, 16, v5
	global_store_dword v[7:8], v5, off
	global_load_dword v9, v[0:1], off offset:480
	v_add_u32_e32 v5, 0x1000, v37
	ds_read2_b32 v[5:6], v5 offset0:120 offset1:208
	v_add_co_u32_e32 v7, vcc, s11, v7
	s_waitcnt lgkmcnt(0)
	v_lshrrev_b32_e32 v10, 16, v5
	s_waitcnt vmcnt(0)
	v_mul_f16_sdwa v11, v10, v9 dst_sel:DWORD dst_unused:UNUSED_PAD src0_sel:DWORD src1_sel:WORD_1
	v_fma_f16 v11, v5, v9, v11
	v_mul_f16_sdwa v5, v5, v9 dst_sel:DWORD dst_unused:UNUSED_PAD src0_sel:DWORD src1_sel:WORD_1
	v_cvt_f32_f16_e32 v11, v11
	v_fma_f16 v5, v9, v10, -v5
	v_cvt_f32_f16_e32 v5, v5
	v_cvt_f64_f32_e32 v[9:10], v11
	v_cvt_f64_f32_e32 v[11:12], v5
	v_mov_b32_e32 v5, s12
	v_mul_f64 v[9:10], v[9:10], s[14:15]
	v_addc_co_u32_e32 v8, vcc, v8, v5, vcc
	v_mul_f64 v[11:12], v[11:12], s[14:15]
	v_and_or_b32 v5, v10, s16, v9
	v_cmp_ne_u32_e32 vcc, 0, v5
	v_lshrrev_b32_e32 v9, 8, v10
	v_and_or_b32 v11, v12, s16, v11
	v_bfe_u32 v13, v10, 20, 11
	v_cndmask_b32_e64 v5, 0, 1, vcc
	v_cmp_ne_u32_e32 vcc, 0, v11
	v_lshrrev_b32_e32 v14, 8, v12
	v_bfe_u32 v15, v12, 20, 11
	v_sub_u32_e32 v16, 0x3f1, v13
	v_cndmask_b32_e64 v11, 0, 1, vcc
	v_and_or_b32 v5, v9, s10, v5
	v_sub_u32_e32 v17, 0x3f1, v15
	v_med3_i32 v9, v16, 0, 13
	v_and_or_b32 v11, v14, s10, v11
	v_or_b32_e32 v16, 0x1000, v5
	v_add_u32_e32 v13, 0xfffffc10, v13
	v_med3_i32 v14, v17, 0, 13
	v_cmp_ne_u32_e32 vcc, 0, v5
	v_or_b32_e32 v18, 0x1000, v11
	v_lshrrev_b32_e32 v20, v9, v16
	v_add_u32_e32 v15, 0xfffffc10, v15
	v_lshl_or_b32 v17, v13, 12, v5
	v_cndmask_b32_e64 v5, 0, 1, vcc
	v_cmp_ne_u32_e32 vcc, 0, v11
	v_lshrrev_b32_e32 v21, v14, v18
	v_lshlrev_b32_e32 v9, v9, v20
	v_lshl_or_b32 v19, v15, 12, v11
	v_cndmask_b32_e64 v11, 0, 1, vcc
	v_lshlrev_b32_e32 v14, v14, v21
	v_cmp_ne_u32_e32 vcc, v9, v16
	v_cndmask_b32_e64 v9, 0, 1, vcc
	v_cmp_ne_u32_e32 vcc, v14, v18
	v_cndmask_b32_e64 v14, 0, 1, vcc
	v_or_b32_e32 v9, v20, v9
	v_cmp_gt_i32_e32 vcc, 1, v13
	v_cndmask_b32_e32 v9, v17, v9, vcc
	v_or_b32_e32 v14, v21, v14
	v_cmp_gt_i32_e32 vcc, 1, v15
	v_and_b32_e32 v16, 7, v9
	v_cndmask_b32_e32 v14, v19, v14, vcc
	v_cmp_lt_i32_e32 vcc, 5, v16
	v_cmp_eq_u32_e64 s[0:1], 3, v16
	v_lshrrev_b32_e32 v9, 2, v9
	v_and_b32_e32 v17, 7, v14
	s_or_b64 vcc, s[0:1], vcc
	v_cmp_lt_i32_e64 s[2:3], 5, v17
	v_cmp_eq_u32_e64 s[4:5], 3, v17
	v_addc_co_u32_e32 v9, vcc, 0, v9, vcc
	v_lshrrev_b32_e32 v14, 2, v14
	s_or_b64 vcc, s[4:5], s[2:3]
	v_addc_co_u32_e32 v14, vcc, 0, v14, vcc
	v_cmp_gt_i32_e32 vcc, 31, v13
	v_cndmask_b32_e32 v9, v2, v9, vcc
	v_cmp_gt_i32_e32 vcc, 31, v15
	v_lshl_or_b32 v5, v5, 9, v2
	v_cndmask_b32_e32 v14, v2, v14, vcc
	v_cmp_eq_u32_e32 vcc, s18, v13
	v_lshrrev_b32_e32 v10, 16, v10
	v_lshl_or_b32 v11, v11, 9, v2
	v_cndmask_b32_e32 v5, v9, v5, vcc
	v_cmp_eq_u32_e32 vcc, s18, v15
	v_lshrrev_b32_e32 v12, 16, v12
	v_cndmask_b32_e32 v9, v14, v11, vcc
	v_and_or_b32 v5, v10, s17, v5
	v_and_or_b32 v9, v12, s17, v9
	v_and_b32_e32 v5, 0xffff, v5
	v_lshl_or_b32 v5, v9, 16, v5
	global_store_dword v[7:8], v5, off
	global_load_dword v5, v[0:1], off offset:832
	v_lshrrev_b32_e32 v9, 16, v6
	v_mov_b32_e32 v11, s12
	v_add_co_u32_e32 v7, vcc, s11, v7
	v_addc_co_u32_e32 v8, vcc, v8, v11, vcc
	s_waitcnt vmcnt(0)
	v_mul_f16_sdwa v10, v9, v5 dst_sel:DWORD dst_unused:UNUSED_PAD src0_sel:DWORD src1_sel:WORD_1
	v_fma_f16 v10, v6, v5, v10
	v_mul_f16_sdwa v6, v6, v5 dst_sel:DWORD dst_unused:UNUSED_PAD src0_sel:DWORD src1_sel:WORD_1
	v_cvt_f32_f16_e32 v10, v10
	v_fma_f16 v5, v5, v9, -v6
	v_cvt_f32_f16_e32 v9, v5
	v_cvt_f64_f32_e32 v[5:6], v10
	v_cvt_f64_f32_e32 v[9:10], v9
	v_mul_f64 v[5:6], v[5:6], s[14:15]
	v_mul_f64 v[9:10], v[9:10], s[14:15]
	v_and_or_b32 v5, v6, s16, v5
	v_cmp_ne_u32_e32 vcc, 0, v5
	v_and_or_b32 v9, v10, s16, v9
	v_lshrrev_b32_e32 v11, 8, v6
	v_bfe_u32 v12, v6, 20, 11
	v_cndmask_b32_e64 v5, 0, 1, vcc
	v_cmp_ne_u32_e32 vcc, 0, v9
	v_lshrrev_b32_e32 v13, 8, v10
	v_bfe_u32 v14, v10, 20, 11
	v_sub_u32_e32 v15, 0x3f1, v12
	v_cndmask_b32_e64 v9, 0, 1, vcc
	v_and_or_b32 v5, v11, s10, v5
	v_sub_u32_e32 v16, 0x3f1, v14
	v_med3_i32 v11, v15, 0, 13
	v_and_or_b32 v9, v13, s10, v9
	v_or_b32_e32 v15, 0x1000, v5
	v_add_u32_e32 v12, 0xfffffc10, v12
	v_med3_i32 v13, v16, 0, 13
	v_cmp_ne_u32_e32 vcc, 0, v5
	v_or_b32_e32 v17, 0x1000, v9
	v_lshrrev_b32_e32 v19, v11, v15
	v_add_u32_e32 v14, 0xfffffc10, v14
	v_lshl_or_b32 v16, v12, 12, v5
	v_cndmask_b32_e64 v5, 0, 1, vcc
	v_cmp_ne_u32_e32 vcc, 0, v9
	v_lshrrev_b32_e32 v20, v13, v17
	v_lshlrev_b32_e32 v11, v11, v19
	v_lshl_or_b32 v18, v14, 12, v9
	v_cndmask_b32_e64 v9, 0, 1, vcc
	v_lshlrev_b32_e32 v13, v13, v20
	v_cmp_ne_u32_e32 vcc, v11, v15
	v_cndmask_b32_e64 v11, 0, 1, vcc
	v_cmp_ne_u32_e32 vcc, v13, v17
	v_cndmask_b32_e64 v13, 0, 1, vcc
	v_or_b32_e32 v11, v19, v11
	v_cmp_gt_i32_e32 vcc, 1, v12
	v_cndmask_b32_e32 v11, v16, v11, vcc
	v_or_b32_e32 v13, v20, v13
	v_cmp_gt_i32_e32 vcc, 1, v14
	v_and_b32_e32 v15, 7, v11
	v_cndmask_b32_e32 v13, v18, v13, vcc
	v_cmp_lt_i32_e32 vcc, 5, v15
	v_cmp_eq_u32_e64 s[0:1], 3, v15
	v_lshrrev_b32_e32 v11, 2, v11
	v_and_b32_e32 v16, 7, v13
	s_or_b64 vcc, s[0:1], vcc
	v_cmp_lt_i32_e64 s[2:3], 5, v16
	v_cmp_eq_u32_e64 s[4:5], 3, v16
	v_addc_co_u32_e32 v11, vcc, 0, v11, vcc
	v_lshrrev_b32_e32 v13, 2, v13
	s_or_b64 vcc, s[4:5], s[2:3]
	v_addc_co_u32_e32 v13, vcc, 0, v13, vcc
	v_cmp_gt_i32_e32 vcc, 31, v12
	v_cndmask_b32_e32 v11, v2, v11, vcc
	v_cmp_gt_i32_e32 vcc, 31, v14
	v_lshl_or_b32 v5, v5, 9, v2
	v_cndmask_b32_e32 v13, v2, v13, vcc
	v_cmp_eq_u32_e32 vcc, s18, v12
	v_lshrrev_b32_e32 v6, 16, v6
	v_lshl_or_b32 v9, v9, 9, v2
	v_cndmask_b32_e32 v5, v11, v5, vcc
	v_cmp_eq_u32_e32 vcc, s18, v14
	v_lshrrev_b32_e32 v10, 16, v10
	v_cndmask_b32_e32 v9, v13, v9, vcc
	v_and_or_b32 v5, v6, s17, v5
	v_and_or_b32 v6, v10, s17, v9
	v_and_b32_e32 v5, 0xffff, v5
	v_lshl_or_b32 v5, v6, 16, v5
	global_store_dword v[7:8], v5, off
	global_load_dword v5, v[0:1], off offset:1184
	v_add_u32_e32 v0, 0x1400, v37
	ds_read2_b32 v[0:1], v0 offset0:40 offset1:128
	v_mov_b32_e32 v12, s12
	v_add_co_u32_e32 v7, vcc, s11, v7
	v_addc_co_u32_e32 v8, vcc, v8, v12, vcc
	s_waitcnt lgkmcnt(0)
	v_lshrrev_b32_e32 v6, 16, v0
	v_or_b32_e32 v11, 0x580, v36
	s_waitcnt vmcnt(0)
	v_mul_f16_sdwa v9, v6, v5 dst_sel:DWORD dst_unused:UNUSED_PAD src0_sel:DWORD src1_sel:WORD_1
	v_fma_f16 v9, v0, v5, v9
	v_mul_f16_sdwa v0, v0, v5 dst_sel:DWORD dst_unused:UNUSED_PAD src0_sel:DWORD src1_sel:WORD_1
	v_cvt_f32_f16_e32 v9, v9
	v_fma_f16 v0, v5, v6, -v0
	v_cvt_f32_f16_e32 v0, v0
	v_cvt_f64_f32_e32 v[5:6], v9
	v_cvt_f64_f32_e32 v[9:10], v0
	v_lshlrev_b32_e32 v0, 2, v11
	v_mul_f64 v[5:6], v[5:6], s[14:15]
	v_mul_f64 v[9:10], v[9:10], s[14:15]
	v_and_or_b32 v5, v6, s16, v5
	v_cmp_ne_u32_e32 vcc, 0, v5
	v_and_or_b32 v9, v10, s16, v9
	v_lshrrev_b32_e32 v12, 8, v6
	v_bfe_u32 v13, v6, 20, 11
	v_cndmask_b32_e64 v5, 0, 1, vcc
	v_cmp_ne_u32_e32 vcc, 0, v9
	v_lshrrev_b32_e32 v14, 8, v10
	v_bfe_u32 v15, v10, 20, 11
	v_sub_u32_e32 v16, 0x3f1, v13
	v_cndmask_b32_e64 v9, 0, 1, vcc
	v_and_or_b32 v5, v12, s10, v5
	v_sub_u32_e32 v17, 0x3f1, v15
	v_med3_i32 v12, v16, 0, 13
	v_and_or_b32 v9, v14, s10, v9
	v_or_b32_e32 v16, 0x1000, v5
	v_add_u32_e32 v13, 0xfffffc10, v13
	v_med3_i32 v14, v17, 0, 13
	v_cmp_ne_u32_e32 vcc, 0, v5
	v_or_b32_e32 v18, 0x1000, v9
	v_lshrrev_b32_e32 v20, v12, v16
	v_add_u32_e32 v15, 0xfffffc10, v15
	v_lshl_or_b32 v17, v13, 12, v5
	v_cndmask_b32_e64 v5, 0, 1, vcc
	v_cmp_ne_u32_e32 vcc, 0, v9
	v_lshrrev_b32_e32 v21, v14, v18
	v_lshlrev_b32_e32 v12, v12, v20
	v_lshl_or_b32 v19, v15, 12, v9
	v_cndmask_b32_e64 v9, 0, 1, vcc
	v_lshlrev_b32_e32 v14, v14, v21
	v_cmp_ne_u32_e32 vcc, v12, v16
	v_cndmask_b32_e64 v12, 0, 1, vcc
	v_cmp_ne_u32_e32 vcc, v14, v18
	v_cndmask_b32_e64 v14, 0, 1, vcc
	v_or_b32_e32 v12, v20, v12
	v_cmp_gt_i32_e32 vcc, 1, v13
	v_cndmask_b32_e32 v12, v17, v12, vcc
	v_or_b32_e32 v14, v21, v14
	v_cmp_gt_i32_e32 vcc, 1, v15
	v_and_b32_e32 v16, 7, v12
	v_cndmask_b32_e32 v14, v19, v14, vcc
	v_cmp_lt_i32_e32 vcc, 5, v16
	v_cmp_eq_u32_e64 s[0:1], 3, v16
	v_lshrrev_b32_e32 v12, 2, v12
	v_and_b32_e32 v17, 7, v14
	s_or_b64 vcc, s[0:1], vcc
	v_cmp_lt_i32_e64 s[2:3], 5, v17
	v_cmp_eq_u32_e64 s[4:5], 3, v17
	v_addc_co_u32_e32 v12, vcc, 0, v12, vcc
	v_lshrrev_b32_e32 v14, 2, v14
	s_or_b64 vcc, s[4:5], s[2:3]
	v_addc_co_u32_e32 v14, vcc, 0, v14, vcc
	v_cmp_gt_i32_e32 vcc, 31, v13
	v_cndmask_b32_e32 v12, v2, v12, vcc
	v_cmp_gt_i32_e32 vcc, 31, v15
	v_lshl_or_b32 v5, v5, 9, v2
	v_cndmask_b32_e32 v14, v2, v14, vcc
	v_cmp_eq_u32_e32 vcc, s18, v13
	v_lshrrev_b32_e32 v6, 16, v6
	v_lshl_or_b32 v9, v9, 9, v2
	v_cndmask_b32_e32 v5, v12, v5, vcc
	v_cmp_eq_u32_e32 vcc, s18, v15
	v_lshrrev_b32_e32 v10, 16, v10
	v_cndmask_b32_e32 v9, v14, v9, vcc
	v_and_or_b32 v5, v6, s17, v5
	v_and_or_b32 v6, v10, s17, v9
	v_and_b32_e32 v5, 0xffff, v5
	v_lshl_or_b32 v5, v6, 16, v5
	global_store_dword v[7:8], v5, off
	global_load_dword v0, v0, s[6:7]
	v_lshrrev_b32_e32 v7, 16, v1
	v_mad_u64_u32 v[5:6], s[0:1], s8, v11, 0
	s_waitcnt vmcnt(0)
	v_mul_f16_sdwa v8, v7, v0 dst_sel:DWORD dst_unused:UNUSED_PAD src0_sel:DWORD src1_sel:WORD_1
	v_fma_f16 v8, v1, v0, v8
	v_mul_f16_sdwa v1, v1, v0 dst_sel:DWORD dst_unused:UNUSED_PAD src0_sel:DWORD src1_sel:WORD_1
	v_cvt_f32_f16_e32 v8, v8
	v_fma_f16 v0, v0, v7, -v1
	v_cvt_f32_f16_e32 v7, v0
	v_cvt_f64_f32_e32 v[0:1], v8
	v_cvt_f64_f32_e32 v[7:8], v7
	v_mul_f64 v[0:1], v[0:1], s[14:15]
	v_mad_u64_u32 v[9:10], s[0:1], s9, v11, v[6:7]
	v_mul_f64 v[7:8], v[7:8], s[14:15]
	v_mov_b32_e32 v6, v9
	v_lshlrev_b64 v[5:6], 2, v[5:6]
	v_and_or_b32 v0, v1, s16, v0
	v_cmp_ne_u32_e32 vcc, 0, v0
	v_lshrrev_b32_e32 v9, 8, v1
	v_bfe_u32 v10, v1, 20, 11
	v_and_or_b32 v7, v8, s16, v7
	v_cndmask_b32_e64 v0, 0, 1, vcc
	v_cmp_ne_u32_e32 vcc, 0, v7
	v_lshrrev_b32_e32 v11, 8, v8
	v_bfe_u32 v12, v8, 20, 11
	v_sub_u32_e32 v13, 0x3f1, v10
	v_cndmask_b32_e64 v7, 0, 1, vcc
	v_and_or_b32 v0, v9, s10, v0
	v_sub_u32_e32 v14, 0x3f1, v12
	v_med3_i32 v9, v13, 0, 13
	v_and_or_b32 v7, v11, s10, v7
	v_or_b32_e32 v13, 0x1000, v0
	v_add_u32_e32 v10, 0xfffffc10, v10
	v_med3_i32 v11, v14, 0, 13
	v_cmp_ne_u32_e32 vcc, 0, v0
	v_or_b32_e32 v15, 0x1000, v7
	v_lshrrev_b32_e32 v17, v9, v13
	v_add_u32_e32 v12, 0xfffffc10, v12
	v_lshl_or_b32 v14, v10, 12, v0
	v_cndmask_b32_e64 v0, 0, 1, vcc
	v_cmp_ne_u32_e32 vcc, 0, v7
	v_lshrrev_b32_e32 v18, v11, v15
	v_lshlrev_b32_e32 v9, v9, v17
	v_lshl_or_b32 v16, v12, 12, v7
	v_cndmask_b32_e64 v7, 0, 1, vcc
	v_lshlrev_b32_e32 v11, v11, v18
	v_cmp_ne_u32_e32 vcc, v9, v13
	v_cndmask_b32_e64 v9, 0, 1, vcc
	v_cmp_ne_u32_e32 vcc, v11, v15
	v_cndmask_b32_e64 v11, 0, 1, vcc
	v_or_b32_e32 v9, v17, v9
	v_cmp_gt_i32_e32 vcc, 1, v10
	v_cndmask_b32_e32 v9, v14, v9, vcc
	v_or_b32_e32 v11, v18, v11
	v_cmp_gt_i32_e32 vcc, 1, v12
	v_and_b32_e32 v13, 7, v9
	v_cndmask_b32_e32 v11, v16, v11, vcc
	v_cmp_lt_i32_e32 vcc, 5, v13
	v_cmp_eq_u32_e64 s[0:1], 3, v13
	v_lshrrev_b32_e32 v9, 2, v9
	v_and_b32_e32 v14, 7, v11
	s_or_b64 vcc, s[0:1], vcc
	v_cmp_lt_i32_e64 s[2:3], 5, v14
	v_cmp_eq_u32_e64 s[4:5], 3, v14
	v_addc_co_u32_e32 v9, vcc, 0, v9, vcc
	v_lshrrev_b32_e32 v11, 2, v11
	s_or_b64 vcc, s[4:5], s[2:3]
	v_addc_co_u32_e32 v11, vcc, 0, v11, vcc
	v_cmp_gt_i32_e32 vcc, 31, v10
	v_cndmask_b32_e32 v9, v2, v9, vcc
	v_cmp_gt_i32_e32 vcc, 31, v12
	v_lshl_or_b32 v0, v0, 9, v2
	v_lshl_or_b32 v7, v7, 9, v2
	v_cndmask_b32_e32 v2, v2, v11, vcc
	v_cmp_eq_u32_e32 vcc, s18, v10
	v_lshrrev_b32_e32 v1, 16, v1
	v_cndmask_b32_e32 v0, v9, v0, vcc
	v_cmp_eq_u32_e32 vcc, s18, v12
	v_lshrrev_b32_e32 v8, 16, v8
	v_cndmask_b32_e32 v2, v2, v7, vcc
	v_and_or_b32 v0, v1, s17, v0
	v_and_or_b32 v1, v8, s17, v2
	v_and_b32_e32 v0, 0xffff, v0
	v_lshl_or_b32 v2, v1, 16, v0
	v_add_co_u32_e32 v0, vcc, v3, v5
	v_addc_co_u32_e32 v1, vcc, v4, v6, vcc
	global_store_dword v[0:1], v2, off
.LBB0_23:
	s_endpgm
	.section	.rodata,"a",@progbits
	.p2align	6, 0x0
	.amdhsa_kernel bluestein_single_back_len1496_dim1_half_op_CI_CI
		.amdhsa_group_segment_fixed_size 5984
		.amdhsa_private_segment_fixed_size 0
		.amdhsa_kernarg_size 104
		.amdhsa_user_sgpr_count 6
		.amdhsa_user_sgpr_private_segment_buffer 1
		.amdhsa_user_sgpr_dispatch_ptr 0
		.amdhsa_user_sgpr_queue_ptr 0
		.amdhsa_user_sgpr_kernarg_segment_ptr 1
		.amdhsa_user_sgpr_dispatch_id 0
		.amdhsa_user_sgpr_flat_scratch_init 0
		.amdhsa_user_sgpr_private_segment_size 0
		.amdhsa_uses_dynamic_stack 0
		.amdhsa_system_sgpr_private_segment_wavefront_offset 0
		.amdhsa_system_sgpr_workgroup_id_x 1
		.amdhsa_system_sgpr_workgroup_id_y 0
		.amdhsa_system_sgpr_workgroup_id_z 0
		.amdhsa_system_sgpr_workgroup_info 0
		.amdhsa_system_vgpr_workitem_id 0
		.amdhsa_next_free_vgpr 254
		.amdhsa_next_free_sgpr 37
		.amdhsa_reserve_vcc 1
		.amdhsa_reserve_flat_scratch 0
		.amdhsa_float_round_mode_32 0
		.amdhsa_float_round_mode_16_64 0
		.amdhsa_float_denorm_mode_32 3
		.amdhsa_float_denorm_mode_16_64 3
		.amdhsa_dx10_clamp 1
		.amdhsa_ieee_mode 1
		.amdhsa_fp16_overflow 0
		.amdhsa_exception_fp_ieee_invalid_op 0
		.amdhsa_exception_fp_denorm_src 0
		.amdhsa_exception_fp_ieee_div_zero 0
		.amdhsa_exception_fp_ieee_overflow 0
		.amdhsa_exception_fp_ieee_underflow 0
		.amdhsa_exception_fp_ieee_inexact 0
		.amdhsa_exception_int_div_zero 0
	.end_amdhsa_kernel
	.text
.Lfunc_end0:
	.size	bluestein_single_back_len1496_dim1_half_op_CI_CI, .Lfunc_end0-bluestein_single_back_len1496_dim1_half_op_CI_CI
                                        ; -- End function
	.section	.AMDGPU.csdata,"",@progbits
; Kernel info:
; codeLenInByte = 29544
; NumSgprs: 41
; NumVgprs: 254
; ScratchSize: 0
; MemoryBound: 0
; FloatMode: 240
; IeeeMode: 1
; LDSByteSize: 5984 bytes/workgroup (compile time only)
; SGPRBlocks: 5
; VGPRBlocks: 63
; NumSGPRsForWavesPerEU: 41
; NumVGPRsForWavesPerEU: 254
; Occupancy: 1
; WaveLimiterHint : 1
; COMPUTE_PGM_RSRC2:SCRATCH_EN: 0
; COMPUTE_PGM_RSRC2:USER_SGPR: 6
; COMPUTE_PGM_RSRC2:TRAP_HANDLER: 0
; COMPUTE_PGM_RSRC2:TGID_X_EN: 1
; COMPUTE_PGM_RSRC2:TGID_Y_EN: 0
; COMPUTE_PGM_RSRC2:TGID_Z_EN: 0
; COMPUTE_PGM_RSRC2:TIDIG_COMP_CNT: 0
	.type	__hip_cuid_5090a49249279e58,@object ; @__hip_cuid_5090a49249279e58
	.section	.bss,"aw",@nobits
	.globl	__hip_cuid_5090a49249279e58
__hip_cuid_5090a49249279e58:
	.byte	0                               ; 0x0
	.size	__hip_cuid_5090a49249279e58, 1

	.ident	"AMD clang version 19.0.0git (https://github.com/RadeonOpenCompute/llvm-project roc-6.4.0 25133 c7fe45cf4b819c5991fe208aaa96edf142730f1d)"
	.section	".note.GNU-stack","",@progbits
	.addrsig
	.addrsig_sym __hip_cuid_5090a49249279e58
	.amdgpu_metadata
---
amdhsa.kernels:
  - .args:
      - .actual_access:  read_only
        .address_space:  global
        .offset:         0
        .size:           8
        .value_kind:     global_buffer
      - .actual_access:  read_only
        .address_space:  global
        .offset:         8
        .size:           8
        .value_kind:     global_buffer
      - .actual_access:  read_only
        .address_space:  global
        .offset:         16
        .size:           8
        .value_kind:     global_buffer
      - .actual_access:  read_only
        .address_space:  global
        .offset:         24
        .size:           8
        .value_kind:     global_buffer
      - .actual_access:  read_only
        .address_space:  global
        .offset:         32
        .size:           8
        .value_kind:     global_buffer
      - .offset:         40
        .size:           8
        .value_kind:     by_value
      - .address_space:  global
        .offset:         48
        .size:           8
        .value_kind:     global_buffer
      - .address_space:  global
        .offset:         56
        .size:           8
        .value_kind:     global_buffer
      - .address_space:  global
        .offset:         64
        .size:           8
        .value_kind:     global_buffer
      - .address_space:  global
        .offset:         72
        .size:           8
        .value_kind:     global_buffer
      - .offset:         80
        .size:           4
        .value_kind:     by_value
      - .address_space:  global
        .offset:         88
        .size:           8
        .value_kind:     global_buffer
      - .address_space:  global
        .offset:         96
        .size:           8
        .value_kind:     global_buffer
    .group_segment_fixed_size: 5984
    .kernarg_segment_align: 8
    .kernarg_segment_size: 104
    .language:       OpenCL C
    .language_version:
      - 2
      - 0
    .max_flat_workgroup_size: 187
    .name:           bluestein_single_back_len1496_dim1_half_op_CI_CI
    .private_segment_fixed_size: 0
    .sgpr_count:     41
    .sgpr_spill_count: 0
    .symbol:         bluestein_single_back_len1496_dim1_half_op_CI_CI.kd
    .uniform_work_group_size: 1
    .uses_dynamic_stack: false
    .vgpr_count:     254
    .vgpr_spill_count: 0
    .wavefront_size: 64
amdhsa.target:   amdgcn-amd-amdhsa--gfx906
amdhsa.version:
  - 1
  - 2
...

	.end_amdgpu_metadata
